;; amdgpu-corpus repo=ROCm/rocFFT kind=compiled arch=gfx1030 opt=O3
	.text
	.amdgcn_target "amdgcn-amd-amdhsa--gfx1030"
	.amdhsa_code_object_version 6
	.protected	bluestein_single_back_len1521_dim1_dp_op_CI_CI ; -- Begin function bluestein_single_back_len1521_dim1_dp_op_CI_CI
	.globl	bluestein_single_back_len1521_dim1_dp_op_CI_CI
	.p2align	8
	.type	bluestein_single_back_len1521_dim1_dp_op_CI_CI,@function
bluestein_single_back_len1521_dim1_dp_op_CI_CI: ; @bluestein_single_back_len1521_dim1_dp_op_CI_CI
; %bb.0:
	s_load_dwordx4 s[16:19], s[4:5], 0x28
	v_mul_u32_u24_e32 v1, 0x231, v0
	s_mov_b64 s[50:51], s[2:3]
	s_mov_b64 s[48:49], s[0:1]
	v_mov_b32_e32 v5, 0
	s_add_u32 s48, s48, s7
	v_lshrrev_b32_e32 v1, 16, v1
	s_addc_u32 s49, s49, 0
	s_mov_b32 s0, exec_lo
	v_add_nc_u32_e32 v4, s6, v1
	s_waitcnt lgkmcnt(0)
	v_cmpx_gt_u64_e64 s[16:17], v[4:5]
	s_cbranch_execz .LBB0_18
; %bb.1:
	s_clause 0x1
	s_load_dwordx4 s[8:11], s[4:5], 0x18
	s_load_dwordx4 s[0:3], s[4:5], 0x0
	v_mul_lo_u16 v1, 0x75, v1
	v_mov_b32_e32 v5, v4
	s_mov_b32 s26, 0x42a4c3d2
	s_mov_b32 s30, 0x66966769
	;; [unrolled: 1-line block ×3, first 2 shown]
	v_sub_nc_u16 v8, v0, v1
	s_mov_b32 s22, 0x24c2f84
	s_mov_b32 s28, 0x4bc48dbf
	;; [unrolled: 1-line block ×4, first 2 shown]
	v_and_b32_e32 v25, 0xffff, v8
	s_mov_b32 s27, 0xbfea55e2
	s_mov_b32 s31, 0xbfefc445
	;; [unrolled: 1-line block ×4, first 2 shown]
	v_lshlrev_b32_e32 v255, 4, v25
	s_mov_b32 s29, 0xbfcea1e5
	s_mov_b32 s16, 0x93053d00
	s_waitcnt lgkmcnt(0)
	s_load_dwordx4 s[12:15], s[8:9], 0x0
	buffer_store_dword v5, off, s[48:51], 0 ; 4-byte Folded Spill
	buffer_store_dword v6, off, s[48:51], 0 offset:4 ; 4-byte Folded Spill
	s_clause 0x1
	global_load_dwordx4 v[26:29], v255, s[0:1]
	global_load_dwordx4 v[54:57], v255, s[0:1] offset:1872
	v_add_co_u32 v12, s0, s0, v255
	v_add_co_ci_u32_e64 v13, null, s1, 0, s0
	s_mov_b32 s0, 0xe00740e9
	s_mov_b32 s1, 0x3fec55a7
	;; [unrolled: 1-line block ×9, first 2 shown]
	s_load_dwordx2 s[4:5], s[4:5], 0x38
	s_waitcnt lgkmcnt(0)
	v_mad_u64_u32 v[0:1], null, s14, v4, 0
	v_mad_u64_u32 v[2:3], null, s12, v25, 0
	s_mul_i32 s7, s13, 0x750
	s_mul_hi_u32 s8, s12, 0x750
	s_mul_i32 s6, s12, 0x750
	s_add_i32 s7, s8, s7
	v_mad_u64_u32 v[4:5], null, s15, v4, v[1:2]
	s_mov_b32 s14, 0xb2365da1
	s_mov_b32 s15, 0xbfd6b1d8
	v_mad_u64_u32 v[5:6], null, s13, v25, v[3:4]
	v_mov_b32_e32 v1, v4
	s_mov_b32 s12, 0xd0032e0c
	s_mov_b32 s13, 0xbfe7f3cc
	v_lshlrev_b64 v[0:1], 4, v[0:1]
	v_mov_b32_e32 v3, v5
	v_add_co_u32 v0, vcc_lo, s18, v0
	v_lshlrev_b64 v[2:3], 4, v[2:3]
	v_add_co_ci_u32_e32 v1, vcc_lo, s19, v1, vcc_lo
	s_mov_b32 s18, 0x1ea71119
	s_mov_b32 s19, 0x3fe22d96
	v_add_co_u32 v4, vcc_lo, v0, v2
	v_add_co_ci_u32_e32 v5, vcc_lo, v1, v3, vcc_lo
	v_add_co_u32 v9, vcc_lo, v4, s6
	v_add_co_ci_u32_e32 v10, vcc_lo, s7, v5, vcc_lo
	global_load_dwordx4 v[0:3], v[4:5], off
	v_add_co_u32 v14, vcc_lo, 0x800, v12
	global_load_dwordx4 v[4:7], v[9:10], off
	v_add_co_ci_u32_e32 v15, vcc_lo, 0, v13, vcc_lo
	v_add_co_u32 v9, vcc_lo, v9, s6
	v_add_co_ci_u32_e32 v10, vcc_lo, s7, v10, vcc_lo
	v_add_co_u32 v16, vcc_lo, 0x1000, v12
	v_add_co_ci_u32_e32 v17, vcc_lo, 0, v13, vcc_lo
	global_load_dwordx4 v[74:77], v[14:15], off offset:1696
	global_load_dwordx4 v[20:23], v[9:10], off
	v_add_co_u32 v9, vcc_lo, v9, s6
	v_add_co_ci_u32_e32 v10, vcc_lo, s7, v10, vcc_lo
	v_add_co_u32 v14, vcc_lo, 0x1800, v12
	v_add_co_ci_u32_e32 v15, vcc_lo, 0, v13, vcc_lo
	global_load_dwordx4 v[60:63], v[16:17], off offset:1520
	global_load_dwordx4 v[32:35], v[9:10], off
	v_add_co_u32 v9, vcc_lo, v9, s6
	v_add_co_ci_u32_e32 v10, vcc_lo, s7, v10, vcc_lo
	global_load_dwordx4 v[64:67], v[14:15], off offset:1344
	global_load_dwordx4 v[36:39], v[9:10], off
	v_add_co_u32 v14, vcc_lo, 0x2000, v12
	v_add_co_ci_u32_e32 v15, vcc_lo, 0, v13, vcc_lo
	v_add_co_u32 v9, vcc_lo, v9, s6
	v_add_co_ci_u32_e32 v10, vcc_lo, s7, v10, vcc_lo
	global_load_dwordx4 v[16:19], v[14:15], off offset:1168
	global_load_dwordx4 v[40:43], v[9:10], off
	v_add_co_u32 v14, vcc_lo, 0x2800, v12
	v_add_co_ci_u32_e32 v15, vcc_lo, 0, v13, vcc_lo
	v_add_co_u32 v9, vcc_lo, v9, s6
	v_add_co_ci_u32_e32 v10, vcc_lo, s7, v10, vcc_lo
	global_load_dwordx4 v[70:73], v[14:15], off offset:992
	global_load_dwordx4 v[44:47], v[9:10], off
	s_waitcnt vmcnt(11)
	v_mul_f64 v[14:15], v[2:3], v[28:29]
	v_mul_f64 v[48:49], v[0:1], v[28:29]
	s_waitcnt vmcnt(10)
	v_mul_f64 v[50:51], v[6:7], v[56:57]
	v_mul_f64 v[52:53], v[4:5], v[56:57]
	v_fma_f64 v[0:1], v[0:1], v[26:27], v[14:15]
	buffer_store_dword v26, off, s[48:51], 0 offset:12 ; 4-byte Folded Spill
	buffer_store_dword v27, off, s[48:51], 0 offset:16 ; 4-byte Folded Spill
	;; [unrolled: 1-line block ×4, first 2 shown]
	s_waitcnt vmcnt(8)
	v_mul_f64 v[14:15], v[22:23], v[76:77]
	v_fma_f64 v[4:5], v[4:5], v[54:55], v[50:51]
	buffer_store_dword v54, off, s[48:51], 0 offset:44 ; 4-byte Folded Spill
	buffer_store_dword v55, off, s[48:51], 0 offset:48 ; 4-byte Folded Spill
	;; [unrolled: 1-line block ×4, first 2 shown]
	s_waitcnt vmcnt(6)
	v_mul_f64 v[50:51], v[34:35], v[62:63]
	v_mul_f64 v[58:59], v[32:33], v[62:63]
	v_fma_f64 v[56:57], v[32:33], v[60:61], v[50:51]
	s_waitcnt vmcnt(2)
	v_mul_f64 v[32:33], v[40:41], v[18:19]
	v_fma_f64 v[2:3], v[2:3], v[26:27], -v[48:49]
	v_mul_f64 v[48:49], v[20:21], v[76:77]
	v_fma_f64 v[6:7], v[6:7], v[54:55], -v[52:53]
	v_fma_f64 v[52:53], v[20:21], v[74:75], v[14:15]
	buffer_store_dword v74, off, s[48:51], 0 offset:124 ; 4-byte Folded Spill
	buffer_store_dword v75, off, s[48:51], 0 offset:128 ; 4-byte Folded Spill
	;; [unrolled: 1-line block ×8, first 2 shown]
	v_mul_f64 v[14:15], v[38:39], v[66:67]
	v_mul_f64 v[20:21], v[36:37], v[66:67]
	v_fma_f64 v[54:55], v[22:23], v[74:75], -v[48:49]
	v_fma_f64 v[58:59], v[34:35], v[60:61], -v[58:59]
	v_fma_f64 v[60:61], v[36:37], v[64:65], v[14:15]
	buffer_store_dword v64, off, s[48:51], 0 offset:108 ; 4-byte Folded Spill
	buffer_store_dword v65, off, s[48:51], 0 offset:112 ; 4-byte Folded Spill
	;; [unrolled: 1-line block ×4, first 2 shown]
	v_mul_f64 v[22:23], v[42:43], v[18:19]
	s_waitcnt vmcnt(0)
	v_mul_f64 v[14:15], v[46:47], v[72:73]
	v_mul_f64 v[34:35], v[44:45], v[72:73]
	v_fma_f64 v[68:69], v[44:45], v[70:71], v[14:15]
	v_fma_f64 v[62:63], v[38:39], v[64:65], -v[20:21]
	v_fma_f64 v[64:65], v[40:41], v[16:17], v[22:23]
	buffer_store_dword v16, off, s[48:51], 0 offset:28 ; 4-byte Folded Spill
	buffer_store_dword v17, off, s[48:51], 0 offset:32 ; 4-byte Folded Spill
	;; [unrolled: 1-line block ×4, first 2 shown]
	v_add_co_u32 v20, vcc_lo, 0x3000, v12
	v_add_co_ci_u32_e32 v21, vcc_lo, 0, v13, vcc_lo
	v_add_co_u32 v9, vcc_lo, v9, s6
	v_add_co_ci_u32_e32 v10, vcc_lo, s7, v10, vcc_lo
	v_fma_f64 v[66:67], v[42:43], v[16:17], -v[32:33]
	global_load_dwordx4 v[16:19], v[20:21], off offset:816
	buffer_store_dword v70, off, s[48:51], 0 offset:60 ; 4-byte Folded Spill
	buffer_store_dword v71, off, s[48:51], 0 offset:64 ; 4-byte Folded Spill
	;; [unrolled: 1-line block ×4, first 2 shown]
	v_fma_f64 v[70:71], v[46:47], v[70:71], -v[34:35]
	global_load_dwordx4 v[32:35], v[9:10], off
	v_add_co_u32 v9, vcc_lo, v9, s6
	v_add_co_ci_u32_e32 v10, vcc_lo, s7, v10, vcc_lo
	s_waitcnt vmcnt(0)
	v_mul_f64 v[14:15], v[34:35], v[18:19]
	v_mul_f64 v[36:37], v[32:33], v[18:19]
	v_fma_f64 v[72:73], v[32:33], v[16:17], v[14:15]
	buffer_store_dword v16, off, s[48:51], 0 offset:92 ; 4-byte Folded Spill
	buffer_store_dword v17, off, s[48:51], 0 offset:96 ; 4-byte Folded Spill
	;; [unrolled: 1-line block ×4, first 2 shown]
	v_add_co_u32 v14, vcc_lo, 0x3800, v12
	v_add_co_ci_u32_e32 v15, vcc_lo, 0, v13, vcc_lo
	v_fma_f64 v[74:75], v[34:35], v[16:17], -v[36:37]
	global_load_dwordx4 v[16:19], v[14:15], off offset:640
	global_load_dwordx4 v[36:39], v[9:10], off
	v_add_co_u32 v9, vcc_lo, v9, s6
	v_add_co_ci_u32_e32 v10, vcc_lo, s7, v10, vcc_lo
	s_waitcnt vmcnt(0)
	v_mul_f64 v[14:15], v[38:39], v[18:19]
	v_mul_f64 v[40:41], v[36:37], v[18:19]
	v_fma_f64 v[76:77], v[36:37], v[16:17], v[14:15]
	buffer_store_dword v16, off, s[48:51], 0 offset:140 ; 4-byte Folded Spill
	buffer_store_dword v17, off, s[48:51], 0 offset:144 ; 4-byte Folded Spill
	;; [unrolled: 1-line block ×4, first 2 shown]
	v_add_co_u32 v14, vcc_lo, 0x4000, v12
	v_add_co_ci_u32_e32 v15, vcc_lo, 0, v13, vcc_lo
	v_fma_f64 v[78:79], v[38:39], v[16:17], -v[40:41]
	global_load_dwordx4 v[36:39], v[14:15], off offset:464
	global_load_dwordx4 v[40:43], v[9:10], off
	v_add_co_u32 v9, vcc_lo, v9, s6
	v_add_co_ci_u32_e32 v10, vcc_lo, s7, v10, vcc_lo
	s_waitcnt vmcnt(0)
	v_mul_f64 v[14:15], v[42:43], v[38:39]
	v_mul_f64 v[44:45], v[40:41], v[38:39]
	v_fma_f64 v[80:81], v[40:41], v[36:37], v[14:15]
	v_add_co_u32 v14, vcc_lo, 0x4800, v12
	v_add_co_ci_u32_e32 v15, vcc_lo, 0, v13, vcc_lo
	v_fma_f64 v[82:83], v[42:43], v[36:37], -v[44:45]
	global_load_dwordx4 v[40:43], v[14:15], off offset:288
	global_load_dwordx4 v[44:47], v[9:10], off
	v_add_co_u32 v9, vcc_lo, v9, s6
	v_add_co_ci_u32_e32 v10, vcc_lo, s7, v10, vcc_lo
	s_waitcnt vmcnt(0)
	v_mul_f64 v[14:15], v[46:47], v[42:43]
	v_mul_f64 v[48:49], v[44:45], v[42:43]
	v_fma_f64 v[84:85], v[44:45], v[40:41], v[14:15]
	v_add_co_u32 v14, vcc_lo, 0x5000, v12
	v_add_co_ci_u32_e32 v15, vcc_lo, 0, v13, vcc_lo
	v_fma_f64 v[86:87], v[46:47], v[40:41], -v[48:49]
	s_clause 0x1
	global_load_dwordx4 v[44:47], v[14:15], off offset:112
	global_load_dwordx4 v[48:51], v[14:15], off offset:1984
	global_load_dwordx4 v[88:91], v[9:10], off
	v_add_co_u32 v9, vcc_lo, v9, s6
	v_add_co_ci_u32_e32 v10, vcc_lo, s7, v10, vcc_lo
	s_mov_b32 s6, 0xebaa3ed8
	s_mov_b32 s7, 0x3fbedb7d
	v_cmp_gt_u16_e32 vcc_lo, 39, v8
	s_waitcnt vmcnt(0)
	v_mul_f64 v[92:93], v[88:89], v[46:47]
	v_mul_f64 v[14:15], v[90:91], v[46:47]
	v_fma_f64 v[90:91], v[90:91], v[44:45], -v[92:93]
	global_load_dwordx4 v[92:95], v[9:10], off
	v_fma_f64 v[88:89], v[88:89], v[44:45], v[14:15]
	ds_write_b128 v255, v[0:3]
	ds_write_b128 v255, v[4:7] offset:1872
	ds_write_b128 v255, v[52:55] offset:3744
	;; [unrolled: 1-line block ×8, first 2 shown]
	s_load_dwordx4 s[8:11], s[10:11], 0x0
	s_waitcnt vmcnt(0)
	v_mul_f64 v[9:10], v[94:95], v[50:51]
	v_mul_f64 v[14:15], v[92:93], v[50:51]
	v_fma_f64 v[92:93], v[92:93], v[48:49], v[9:10]
	v_fma_f64 v[94:95], v[94:95], v[48:49], -v[14:15]
	ds_write_b128 v255, v[80:83] offset:16848
	ds_write_b128 v255, v[84:87] offset:18720
	;; [unrolled: 1-line block ×4, first 2 shown]
	s_waitcnt lgkmcnt(0)
	s_waitcnt_vscnt null, 0x0
	s_barrier
	buffer_gl0_inv
	ds_read_b128 v[52:55], v255
	ds_read_b128 v[56:59], v255 offset:1872
	ds_read_b128 v[60:63], v255 offset:3744
	;; [unrolled: 1-line block ×7, first 2 shown]
	s_waitcnt lgkmcnt(6)
	v_add_f64 v[0:1], v[52:53], v[56:57]
	v_add_f64 v[2:3], v[54:55], v[58:59]
	s_waitcnt lgkmcnt(0)
	v_add_f64 v[88:89], v[76:77], -v[80:81]
	v_add_f64 v[90:91], v[78:79], -v[82:83]
	v_add_f64 v[0:1], v[0:1], v[60:61]
	v_add_f64 v[2:3], v[2:3], v[62:63]
	v_mul_f64 v[170:171], v[90:91], s[22:23]
	v_add_f64 v[0:1], v[0:1], v[64:65]
	v_add_f64 v[2:3], v[2:3], v[66:67]
	;; [unrolled: 1-line block ×12, first 2 shown]
	ds_read_b128 v[4:7], v255 offset:14976
	ds_read_b128 v[80:83], v255 offset:16848
	s_waitcnt lgkmcnt(1)
	v_add_f64 v[76:77], v[72:73], v[4:5]
	v_add_f64 v[78:79], v[74:75], v[6:7]
	v_add_f64 v[84:85], v[72:73], -v[4:5]
	v_add_f64 v[98:99], v[74:75], -v[6:7]
	v_add_f64 v[4:5], v[9:10], v[4:5]
	v_add_f64 v[6:7], v[14:15], v[6:7]
	s_waitcnt lgkmcnt(0)
	v_add_f64 v[72:73], v[68:69], v[80:81]
	v_add_f64 v[74:75], v[70:71], v[82:83]
	v_add_f64 v[100:101], v[68:69], -v[80:81]
	v_add_f64 v[102:103], v[70:71], -v[82:83]
	v_mul_f64 v[160:161], v[84:85], s[34:35]
	v_mul_f64 v[158:159], v[98:99], s[34:35]
	v_add_f64 v[9:10], v[4:5], v[80:81]
	v_add_f64 v[14:15], v[6:7], v[82:83]
	ds_read_b128 v[4:7], v255 offset:18720
	ds_read_b128 v[92:95], v255 offset:20592
	v_mul_f64 v[166:167], v[98:99], s[26:27]
	v_mul_f64 v[156:157], v[100:101], s[36:37]
	;; [unrolled: 1-line block ×4, first 2 shown]
	s_waitcnt lgkmcnt(1)
	v_add_f64 v[68:69], v[64:65], v[4:5]
	v_add_f64 v[70:71], v[66:67], v[6:7]
	v_add_f64 v[104:105], v[64:65], -v[4:5]
	v_add_f64 v[106:107], v[66:67], -v[6:7]
	v_add_f64 v[4:5], v[9:10], v[4:5]
	v_add_f64 v[6:7], v[14:15], v[6:7]
	s_waitcnt lgkmcnt(0)
	v_add_f64 v[80:81], v[60:61], v[92:93]
	v_add_f64 v[108:109], v[60:61], -v[92:93]
	v_add_f64 v[82:83], v[62:63], v[94:95]
	v_add_f64 v[110:111], v[62:63], -v[94:95]
	v_add_f64 v[9:10], v[4:5], v[92:93]
	v_add_f64 v[14:15], v[6:7], v[94:95]
	ds_read_b128 v[4:7], v255 offset:22464
	s_waitcnt lgkmcnt(0)
	s_barrier
	buffer_gl0_inv
	v_add_f64 v[60:61], v[58:59], -v[6:7]
	v_add_f64 v[62:63], v[56:57], v[4:5]
	v_add_f64 v[64:65], v[58:59], v[6:7]
	v_add_f64 v[66:67], v[56:57], -v[4:5]
	v_add_f64 v[56:57], v[9:10], v[4:5]
	v_add_f64 v[58:59], v[14:15], v[6:7]
	v_mul_f64 v[4:5], v[60:61], s[24:25]
	v_mul_f64 v[6:7], v[60:61], s[26:27]
	;; [unrolled: 1-line block ×9, first 2 shown]
	v_fma_f64 v[92:93], v[62:63], s[0:1], -v[4:5]
	v_fma_f64 v[4:5], v[62:63], s[0:1], v[4:5]
	v_fma_f64 v[94:95], v[62:63], s[18:19], -v[6:7]
	v_fma_f64 v[6:7], v[62:63], s[18:19], v[6:7]
	;; [unrolled: 2-line block ×6, first 2 shown]
	v_mul_f64 v[62:63], v[66:67], s[24:25]
	v_mul_f64 v[86:87], v[66:67], s[26:27]
	;; [unrolled: 1-line block ×3, first 2 shown]
	v_fma_f64 v[132:133], v[64:65], s[6:7], v[96:97]
	v_fma_f64 v[134:135], v[64:65], s[6:7], -v[96:97]
	v_fma_f64 v[136:137], v[64:65], s[14:15], v[122:123]
	v_fma_f64 v[122:123], v[64:65], s[14:15], -v[122:123]
	;; [unrolled: 2-line block ×3, first 2 shown]
	s_mov_b32 s25, 0x3fddbe06
	v_mul_f64 v[162:163], v[90:91], s[24:25]
	v_add_f64 v[142:143], v[52:53], v[94:95]
	v_mul_f64 v[164:165], v[88:89], s[24:25]
	v_add_f64 v[9:10], v[52:53], v[9:10]
	v_add_f64 v[144:145], v[52:53], v[114:115]
	;; [unrolled: 1-line block ×5, first 2 shown]
	v_fma_f64 v[126:127], v[64:65], s[0:1], v[62:63]
	v_fma_f64 v[62:63], v[64:65], s[0:1], -v[62:63]
	v_fma_f64 v[128:129], v[64:65], s[18:19], v[86:87]
	v_fma_f64 v[130:131], v[64:65], s[18:19], -v[86:87]
	;; [unrolled: 2-line block ×3, first 2 shown]
	v_mul_f64 v[60:61], v[110:111], s[26:27]
	v_add_f64 v[66:67], v[52:53], v[92:93]
	v_add_f64 v[86:87], v[52:53], v[6:7]
	;; [unrolled: 1-line block ×15, first 2 shown]
	v_fma_f64 v[52:53], v[80:81], s[18:19], -v[60:61]
	v_mul_f64 v[64:65], v[108:109], s[26:27]
	v_add_f64 v[128:129], v[54:55], v[128:129]
	v_add_f64 v[4:5], v[54:55], v[124:125]
	;; [unrolled: 1-line block ×3, first 2 shown]
	v_fma_f64 v[60:61], v[80:81], s[18:19], v[60:61]
	v_add_f64 v[52:53], v[52:53], v[66:67]
	v_fma_f64 v[54:55], v[82:83], s[18:19], v[64:65]
	v_mul_f64 v[66:67], v[106:107], s[30:31]
	v_fma_f64 v[64:65], v[82:83], s[18:19], -v[64:65]
	v_add_f64 v[60:61], v[60:61], v[126:127]
	v_mul_f64 v[126:127], v[106:107], s[38:39]
	v_add_f64 v[54:55], v[54:55], v[92:93]
	v_fma_f64 v[92:93], v[68:69], s[6:7], -v[66:67]
	v_add_f64 v[62:63], v[64:65], v[62:63]
	v_fma_f64 v[64:65], v[68:69], s[6:7], v[66:67]
	v_add_f64 v[52:53], v[92:93], v[52:53]
	v_mul_f64 v[92:93], v[104:105], s[30:31]
	v_add_f64 v[60:61], v[64:65], v[60:61]
	v_fma_f64 v[94:95], v[70:71], s[6:7], v[92:93]
	v_fma_f64 v[64:65], v[70:71], s[6:7], -v[92:93]
	v_add_f64 v[54:55], v[94:95], v[54:55]
	v_mul_f64 v[94:95], v[102:103], s[20:21]
	v_add_f64 v[62:63], v[64:65], v[62:63]
	v_fma_f64 v[120:121], v[72:73], s[14:15], -v[94:95]
	v_fma_f64 v[64:65], v[72:73], s[14:15], v[94:95]
	v_add_f64 v[52:53], v[120:121], v[52:53]
	v_mul_f64 v[120:121], v[100:101], s[20:21]
	v_add_f64 v[60:61], v[64:65], v[60:61]
	v_fma_f64 v[122:123], v[74:75], s[14:15], v[120:121]
	v_fma_f64 v[64:65], v[74:75], s[14:15], -v[120:121]
	v_add_f64 v[54:55], v[122:123], v[54:55]
	v_mul_f64 v[122:123], v[98:99], s[22:23]
	v_add_f64 v[62:63], v[64:65], v[62:63]
	v_fma_f64 v[124:125], v[76:77], s[12:13], -v[122:123]
	v_fma_f64 v[64:65], v[76:77], s[12:13], v[122:123]
	v_fma_f64 v[122:123], v[68:69], s[14:15], -v[126:127]
	v_add_f64 v[52:53], v[124:125], v[52:53]
	v_mul_f64 v[124:125], v[84:85], s[22:23]
	v_add_f64 v[60:61], v[64:65], v[60:61]
	v_fma_f64 v[140:141], v[78:79], s[12:13], v[124:125]
	v_fma_f64 v[64:65], v[78:79], s[12:13], -v[124:125]
	v_mul_f64 v[124:125], v[108:109], s[28:29]
	v_add_f64 v[54:55], v[140:141], v[54:55]
	v_mul_f64 v[140:141], v[90:91], s[28:29]
	v_add_f64 v[62:63], v[64:65], v[62:63]
	v_fma_f64 v[120:121], v[82:83], s[16:17], v[124:125]
	v_fma_f64 v[150:151], v[0:1], s[16:17], -v[140:141]
	v_fma_f64 v[64:65], v[0:1], s[16:17], v[140:141]
	v_mul_f64 v[140:141], v[110:111], s[20:21]
	v_add_f64 v[120:121], v[120:121], v[132:133]
	v_mul_f64 v[132:133], v[100:101], s[24:25]
	v_add_f64 v[52:53], v[150:151], v[52:53]
	;; [unrolled: 2-line block ×3, first 2 shown]
	v_fma_f64 v[60:61], v[80:81], s[14:15], -v[140:141]
	v_fma_f64 v[152:153], v[2:3], s[16:17], v[150:151]
	v_fma_f64 v[66:67], v[2:3], s[16:17], -v[150:151]
	v_add_f64 v[60:61], v[60:61], v[142:143]
	v_mul_f64 v[142:143], v[108:109], s[20:21]
	v_mul_f64 v[150:151], v[106:107], s[28:29]
	v_add_f64 v[54:55], v[152:153], v[54:55]
	v_add_f64 v[94:95], v[66:67], v[62:63]
	v_mul_f64 v[152:153], v[104:105], s[28:29]
	v_fma_f64 v[62:63], v[82:83], s[14:15], v[142:143]
	v_fma_f64 v[64:65], v[68:69], s[16:17], -v[150:151]
	v_add_f64 v[62:63], v[62:63], v[128:129]
	v_add_f64 v[60:61], v[64:65], v[60:61]
	v_fma_f64 v[64:65], v[70:71], s[16:17], v[152:153]
	v_mul_f64 v[128:129], v[104:105], s[38:39]
	v_add_f64 v[62:63], v[64:65], v[62:63]
	v_fma_f64 v[64:65], v[72:73], s[12:13], -v[154:155]
	v_add_f64 v[60:61], v[64:65], v[60:61]
	v_fma_f64 v[64:65], v[74:75], s[12:13], v[156:157]
	v_add_f64 v[62:63], v[64:65], v[62:63]
	v_fma_f64 v[64:65], v[76:77], s[6:7], -v[158:159]
	v_add_f64 v[60:61], v[64:65], v[60:61]
	v_fma_f64 v[64:65], v[78:79], s[6:7], v[160:161]
	;; [unrolled: 4-line block ×3, first 2 shown]
	v_add_f64 v[62:63], v[64:65], v[62:63]
	v_mul_f64 v[64:65], v[110:111], s[28:29]
	s_mov_b32 s29, 0x3fea55e2
	v_fma_f64 v[66:67], v[80:81], s[16:17], -v[64:65]
	v_fma_f64 v[64:65], v[80:81], s[16:17], v[64:65]
	v_add_f64 v[66:67], v[66:67], v[130:131]
	v_mul_f64 v[130:131], v[102:103], s[24:25]
	v_add_f64 v[9:10], v[64:65], v[9:10]
	v_fma_f64 v[64:65], v[82:83], s[16:17], -v[124:125]
	v_fma_f64 v[124:125], v[68:69], s[14:15], v[126:127]
	v_add_f64 v[66:67], v[122:123], v[66:67]
	v_fma_f64 v[122:123], v[70:71], s[14:15], v[128:129]
	v_add_f64 v[64:65], v[64:65], v[134:135]
	v_add_f64 v[9:10], v[124:125], v[9:10]
	v_fma_f64 v[124:125], v[70:71], s[14:15], -v[128:129]
	v_mul_f64 v[128:129], v[108:109], s[36:37]
	v_add_f64 v[120:121], v[122:123], v[120:121]
	v_fma_f64 v[122:123], v[72:73], s[0:1], -v[130:131]
	v_add_f64 v[64:65], v[124:125], v[64:65]
	v_fma_f64 v[124:125], v[72:73], s[0:1], v[130:131]
	v_mul_f64 v[130:131], v[106:107], s[24:25]
	v_fma_f64 v[126:127], v[82:83], s[12:13], v[128:129]
	v_add_f64 v[66:67], v[122:123], v[66:67]
	v_fma_f64 v[122:123], v[74:75], s[0:1], v[132:133]
	v_add_f64 v[9:10], v[124:125], v[9:10]
	v_fma_f64 v[124:125], v[74:75], s[0:1], -v[132:133]
	v_fma_f64 v[132:133], v[68:69], s[0:1], -v[130:131]
	v_add_f64 v[126:127], v[126:127], v[136:137]
	v_add_f64 v[120:121], v[122:123], v[120:121]
	v_fma_f64 v[122:123], v[76:77], s[18:19], -v[166:167]
	v_add_f64 v[64:65], v[124:125], v[64:65]
	v_fma_f64 v[124:125], v[76:77], s[18:19], v[166:167]
	v_add_f64 v[66:67], v[122:123], v[66:67]
	v_fma_f64 v[122:123], v[78:79], s[18:19], v[168:169]
	v_add_f64 v[9:10], v[124:125], v[9:10]
	v_fma_f64 v[124:125], v[78:79], s[18:19], -v[168:169]
	v_add_f64 v[122:123], v[122:123], v[120:121]
	v_fma_f64 v[120:121], v[0:1], s[12:13], -v[170:171]
	v_add_f64 v[124:125], v[124:125], v[64:65]
	v_fma_f64 v[64:65], v[0:1], s[12:13], v[170:171]
	v_add_f64 v[120:121], v[120:121], v[66:67]
	v_mul_f64 v[66:67], v[88:89], s[22:23]
	v_add_f64 v[64:65], v[64:65], v[9:10]
	v_mul_f64 v[9:10], v[110:111], s[36:37]
	v_fma_f64 v[172:173], v[2:3], s[12:13], v[66:67]
	v_fma_f64 v[66:67], v[2:3], s[12:13], -v[66:67]
	v_add_f64 v[122:123], v[172:173], v[122:123]
	v_add_f64 v[66:67], v[66:67], v[124:125]
	v_fma_f64 v[124:125], v[80:81], s[12:13], -v[9:10]
	v_fma_f64 v[9:10], v[80:81], s[12:13], v[9:10]
	v_add_f64 v[124:125], v[124:125], v[144:145]
	v_add_f64 v[9:10], v[9:10], v[14:15]
	v_fma_f64 v[14:15], v[82:83], s[12:13], -v[128:129]
	v_fma_f64 v[128:129], v[68:69], s[0:1], v[130:131]
	v_add_f64 v[124:125], v[132:133], v[124:125]
	v_mul_f64 v[132:133], v[104:105], s[24:25]
	v_add_f64 v[14:15], v[14:15], v[146:147]
	v_add_f64 v[9:10], v[128:129], v[9:10]
	v_fma_f64 v[134:135], v[70:71], s[0:1], v[132:133]
	v_fma_f64 v[128:129], v[70:71], s[0:1], -v[132:133]
	v_add_f64 v[126:127], v[134:135], v[126:127]
	v_mul_f64 v[134:135], v[102:103], s[30:31]
	v_add_f64 v[14:15], v[128:129], v[14:15]
	v_fma_f64 v[136:137], v[72:73], s[6:7], -v[134:135]
	v_fma_f64 v[128:129], v[72:73], s[6:7], v[134:135]
	v_add_f64 v[124:125], v[136:137], v[124:125]
	v_mul_f64 v[136:137], v[100:101], s[30:31]
	s_mov_b32 s31, 0x3fcea1e5
	s_mov_b32 s30, s28
	v_add_f64 v[9:10], v[128:129], v[9:10]
	s_mov_b32 s28, s26
	v_mul_f64 v[146:147], v[102:103], s[30:31]
	v_mul_f64 v[102:103], v[102:103], s[28:29]
	v_fma_f64 v[144:145], v[74:75], s[6:7], v[136:137]
	v_fma_f64 v[128:129], v[74:75], s[6:7], -v[136:137]
	v_mul_f64 v[136:137], v[108:109], s[34:35]
	v_mul_f64 v[108:109], v[108:109], s[24:25]
	v_add_f64 v[126:127], v[144:145], v[126:127]
	v_mul_f64 v[144:145], v[98:99], s[30:31]
	v_add_f64 v[14:15], v[128:129], v[14:15]
	v_fma_f64 v[132:133], v[82:83], s[6:7], v[136:137]
	v_fma_f64 v[166:167], v[76:77], s[16:17], -v[144:145]
	v_fma_f64 v[128:129], v[76:77], s[16:17], v[144:145]
	v_add_f64 v[132:133], v[132:133], v[138:139]
	v_mul_f64 v[138:139], v[106:107], s[26:27]
	v_mul_f64 v[144:145], v[104:105], s[26:27]
	;; [unrolled: 1-line block ×4, first 2 shown]
	v_add_f64 v[124:125], v[166:167], v[124:125]
	v_mul_f64 v[166:167], v[84:85], s[30:31]
	v_add_f64 v[9:10], v[128:129], v[9:10]
	v_fma_f64 v[134:135], v[68:69], s[18:19], -v[138:139]
	v_fma_f64 v[168:169], v[78:79], s[16:17], v[166:167]
	v_fma_f64 v[128:129], v[78:79], s[16:17], -v[166:167]
	v_mul_f64 v[166:167], v[98:99], s[24:25]
	v_mul_f64 v[98:99], v[98:99], s[20:21]
	v_add_f64 v[126:127], v[168:169], v[126:127]
	v_mul_f64 v[168:169], v[90:91], s[28:29]
	v_add_f64 v[14:15], v[128:129], v[14:15]
	v_fma_f64 v[170:171], v[0:1], s[18:19], -v[168:169]
	v_fma_f64 v[128:129], v[0:1], s[18:19], v[168:169]
	v_mul_f64 v[168:169], v[84:85], s[24:25]
	v_mul_f64 v[84:85], v[84:85], s[20:21]
	v_add_f64 v[124:125], v[170:171], v[124:125]
	v_mul_f64 v[170:171], v[88:89], s[28:29]
	v_add_f64 v[128:129], v[128:129], v[9:10]
	v_mul_f64 v[9:10], v[110:111], s[34:35]
	v_fma_f64 v[130:131], v[2:3], s[18:19], -v[170:171]
	v_fma_f64 v[172:173], v[2:3], s[18:19], v[170:171]
	v_mul_f64 v[170:171], v[90:91], s[20:21]
	v_add_f64 v[130:131], v[130:131], v[14:15]
	v_fma_f64 v[14:15], v[80:81], s[6:7], -v[9:10]
	v_fma_f64 v[9:10], v[80:81], s[6:7], v[9:10]
	v_add_f64 v[126:127], v[172:173], v[126:127]
	v_add_f64 v[14:15], v[14:15], v[148:149]
	;; [unrolled: 1-line block ×3, first 2 shown]
	v_fma_f64 v[9:10], v[82:83], s[6:7], -v[136:137]
	v_mul_f64 v[148:149], v[100:101], s[30:31]
	v_mul_f64 v[100:101], v[100:101], s[28:29]
	v_add_f64 v[14:15], v[134:135], v[14:15]
	v_fma_f64 v[134:135], v[70:71], s[18:19], v[144:145]
	v_add_f64 v[4:5], v[9:10], v[4:5]
	v_fma_f64 v[9:10], v[68:69], s[18:19], v[138:139]
	v_add_f64 v[132:133], v[134:135], v[132:133]
	v_fma_f64 v[134:135], v[72:73], s[16:17], -v[146:147]
	v_add_f64 v[6:7], v[9:10], v[6:7]
	v_fma_f64 v[9:10], v[70:71], s[18:19], -v[144:145]
	v_add_f64 v[14:15], v[134:135], v[14:15]
	v_fma_f64 v[134:135], v[74:75], s[16:17], v[148:149]
	v_add_f64 v[4:5], v[9:10], v[4:5]
	v_fma_f64 v[9:10], v[72:73], s[16:17], v[146:147]
	v_add_f64 v[132:133], v[134:135], v[132:133]
	v_fma_f64 v[134:135], v[76:77], s[0:1], -v[166:167]
	v_add_f64 v[6:7], v[9:10], v[6:7]
	v_fma_f64 v[9:10], v[74:75], s[16:17], -v[148:149]
	;; [unrolled: 8-line block ×3, first 2 shown]
	v_add_f64 v[132:133], v[132:133], v[14:15]
	v_mul_f64 v[14:15], v[88:89], s[20:21]
	v_add_f64 v[9:10], v[9:10], v[4:5]
	v_fma_f64 v[4:5], v[0:1], s[14:15], v[170:171]
	v_fma_f64 v[172:173], v[2:3], s[14:15], v[14:15]
	v_fma_f64 v[14:15], v[2:3], s[14:15], -v[14:15]
	v_add_f64 v[4:5], v[4:5], v[6:7]
	v_add_f64 v[134:135], v[172:173], v[134:135]
	;; [unrolled: 1-line block ×3, first 2 shown]
	v_mul_f64 v[9:10], v[110:111], s[24:25]
	v_fma_f64 v[110:111], v[82:83], s[0:1], v[108:109]
	v_fma_f64 v[14:15], v[80:81], s[0:1], -v[9:10]
	v_add_f64 v[110:111], v[110:111], v[116:117]
	v_fma_f64 v[116:117], v[68:69], s[12:13], -v[106:107]
	v_fma_f64 v[9:10], v[80:81], s[0:1], v[9:10]
	v_fma_f64 v[106:107], v[68:69], s[12:13], v[106:107]
	;; [unrolled: 1-line block ×3, first 2 shown]
	v_add_f64 v[14:15], v[14:15], v[118:119]
	v_mul_f64 v[118:119], v[88:89], s[34:35]
	v_add_f64 v[9:10], v[9:10], v[114:115]
	v_add_f64 v[14:15], v[116:117], v[14:15]
	v_fma_f64 v[116:117], v[70:71], s[12:13], v[104:105]
	v_fma_f64 v[104:105], v[70:71], s[12:13], -v[104:105]
	v_add_f64 v[9:10], v[106:107], v[9:10]
	v_fma_f64 v[70:71], v[70:71], s[16:17], -v[152:153]
	v_add_f64 v[110:111], v[116:117], v[110:111]
	v_fma_f64 v[116:117], v[72:73], s[18:19], -v[102:103]
	v_fma_f64 v[102:103], v[72:73], s[18:19], v[102:103]
	v_fma_f64 v[72:73], v[72:73], s[12:13], v[154:155]
	v_add_f64 v[14:15], v[116:117], v[14:15]
	v_fma_f64 v[116:117], v[74:75], s[18:19], v[100:101]
	v_fma_f64 v[100:101], v[74:75], s[18:19], -v[100:101]
	v_add_f64 v[9:10], v[102:103], v[9:10]
	v_fma_f64 v[74:75], v[74:75], s[12:13], -v[156:157]
	v_add_f64 v[110:111], v[116:117], v[110:111]
	v_fma_f64 v[116:117], v[76:77], s[14:15], -v[98:99]
	v_fma_f64 v[98:99], v[76:77], s[14:15], v[98:99]
	v_add_f64 v[14:15], v[116:117], v[14:15]
	v_fma_f64 v[116:117], v[78:79], s[14:15], v[84:85]
	v_fma_f64 v[84:85], v[78:79], s[14:15], -v[84:85]
	v_add_f64 v[9:10], v[98:99], v[9:10]
	v_add_f64 v[110:111], v[116:117], v[110:111]
	v_mul_f64 v[116:117], v[90:91], s[34:35]
	v_fma_f64 v[88:89], v[0:1], s[6:7], -v[116:117]
	v_add_f64 v[88:89], v[88:89], v[14:15]
	v_fma_f64 v[14:15], v[2:3], s[6:7], v[118:119]
	v_add_f64 v[90:91], v[14:15], v[110:111]
	v_fma_f64 v[14:15], v[82:83], s[0:1], -v[108:109]
	v_add_f64 v[14:15], v[14:15], v[112:113]
	v_add_f64 v[14:15], v[104:105], v[14:15]
	;; [unrolled: 1-line block ×3, first 2 shown]
	v_fma_f64 v[100:101], v[2:3], s[6:7], -v[118:119]
	v_fma_f64 v[2:3], v[2:3], s[0:1], -v[164:165]
	v_add_f64 v[14:15], v[84:85], v[14:15]
	v_fma_f64 v[84:85], v[0:1], s[6:7], v[116:117]
	v_fma_f64 v[0:1], v[0:1], s[0:1], v[162:163]
	v_add_f64 v[100:101], v[100:101], v[14:15]
	v_add_f64 v[98:99], v[84:85], v[9:10]
	v_fma_f64 v[9:10], v[80:81], s[14:15], v[140:141]
	v_fma_f64 v[14:15], v[82:83], s[14:15], -v[142:143]
                                        ; implicit-def: $vgpr140_vgpr141
	v_add_f64 v[9:10], v[9:10], v[86:87]
	v_add_f64 v[14:15], v[14:15], v[96:97]
	;; [unrolled: 1-line block ×4, first 2 shown]
	v_fma_f64 v[68:69], v[76:77], s[6:7], v[158:159]
	v_fma_f64 v[70:71], v[78:79], s[6:7], -v[160:161]
	v_add_f64 v[9:10], v[72:73], v[9:10]
	v_add_f64 v[14:15], v[74:75], v[14:15]
	;; [unrolled: 1-line block ×6, first 2 shown]
	v_mov_b32_e32 v3, 4
	v_mul_lo_u16 v0, v8, 13
	v_lshlrev_b32_sdwa v240, v3, v0 dst_sel:DWORD dst_unused:UNUSED_PAD src0_sel:DWORD src1_sel:WORD_0
	ds_write_b128 v240, v[52:55] offset:16
	ds_write_b128 v240, v[60:63] offset:32
	;; [unrolled: 1-line block ×12, first 2 shown]
	ds_write_b128 v240, v[56:59]
	s_waitcnt lgkmcnt(0)
	s_barrier
	buffer_gl0_inv
	ds_read_b128 v[104:107], v255
	ds_read_b128 v[96:99], v255 offset:1872
	ds_read_b128 v[144:147], v255 offset:8112
	;; [unrolled: 1-line block ×11, first 2 shown]
                                        ; implicit-def: $vgpr128_vgpr129
	s_and_saveexec_b32 s0, vcc_lo
	s_cbranch_execz .LBB0_3
; %bb.2:
	ds_read_b128 v[92:95], v255 offset:7488
	ds_read_b128 v[128:131], v255 offset:15600
	;; [unrolled: 1-line block ×3, first 2 shown]
.LBB0_3:
	s_or_b32 exec_lo, exec_lo, s0
	v_and_b32_e32 v0, 0xff, v25
	v_add_co_u32 v1, null, 0xea, v25
	v_mov_b32_e32 v6, 0x4ec5
	v_add_nc_u16 v4, v25, 0x75
	v_mul_lo_u16 v0, 0x4f, v0
	v_add_co_u32 v2, null, 0x15f, v25
	v_mul_u32_u24_sdwa v7, v1, v6 dst_sel:DWORD dst_unused:UNUSED_PAD src0_sel:WORD_0 src1_sel:DWORD
	v_and_b32_e32 v5, 0xff, v4
	v_lshrrev_b16 v16, 10, v0
	v_add_nc_u16 v0, v25, 0x1d4
	v_mul_u32_u24_sdwa v8, v2, v6 dst_sel:DWORD dst_unused:UNUSED_PAD src0_sel:WORD_0 src1_sel:DWORD
	v_lshrrev_b32_e32 v17, 18, v7
	v_mul_lo_u16 v7, 0x4f, v5
	v_mul_lo_u16 v9, v16, 13
	v_mul_u32_u24_sdwa v6, v0, v6 dst_sel:DWORD dst_unused:UNUSED_PAD src0_sel:WORD_0 src1_sel:DWORD
	v_lshrrev_b32_e32 v18, 18, v8
	s_mov_b32 s0, 0xe8584caa
	v_lshrrev_b16 v19, 10, v7
	v_sub_nc_u16 v8, v25, v9
	v_lshrrev_b32_e32 v10, 18, v6
	v_mul_lo_u16 v9, v17, 13
	v_mul_lo_u16 v6, v18, 13
	s_mov_b32 s1, 0x3febb67a
	v_and_b32_e32 v20, 0xff, v8
	v_mul_lo_u16 v7, v10, 13
	v_mul_lo_u16 v8, v19, 13
	v_sub_nc_u16 v21, v1, v9
	v_sub_nc_u16 v22, v2, v6
	buffer_store_dword v10, off, s[48:51], 0 offset:156 ; 4-byte Folded Spill
	v_lshlrev_b32_e32 v6, 5, v20
	v_sub_nc_u16 v10, v0, v7
	v_sub_nc_u16 v7, v4, v8
	v_lshlrev_b16 v9, 1, v21
	v_lshlrev_b16 v8, 1, v22
	s_clause 0x1
	global_load_dwordx4 v[80:83], v6, s[2:3]
	global_load_dwordx4 v[76:79], v6, s[2:3] offset:16
	v_lshlrev_b16 v6, 1, v10
	v_and_b32_e32 v23, 0xff, v7
	v_lshlrev_b32_sdwa v9, v3, v9 dst_sel:DWORD dst_unused:UNUSED_PAD src0_sel:DWORD src1_sel:WORD_0
	v_lshlrev_b32_sdwa v7, v3, v8 dst_sel:DWORD dst_unused:UNUSED_PAD src0_sel:DWORD src1_sel:WORD_0
	buffer_store_dword v10, off, s[48:51], 0 offset:160 ; 4-byte Folded Spill
	v_lshlrev_b32_sdwa v6, v3, v6 dst_sel:DWORD dst_unused:UNUSED_PAD src0_sel:DWORD src1_sel:WORD_0
	v_lshlrev_b32_e32 v8, 5, v23
	s_clause 0x7
	global_load_dwordx4 v[72:75], v9, s[2:3]
	global_load_dwordx4 v[68:71], v9, s[2:3] offset:16
	global_load_dwordx4 v[64:67], v7, s[2:3]
	global_load_dwordx4 v[60:63], v7, s[2:3] offset:16
	global_load_dwordx4 v[56:59], v6, s[2:3]
	global_load_dwordx4 v[88:91], v8, s[2:3]
	global_load_dwordx4 v[84:87], v8, s[2:3] offset:16
	global_load_dwordx4 v[52:55], v6, s[2:3] offset:16
	s_mov_b32 s7, 0xbfebb67a
	s_mov_b32 s6, s0
	v_mov_b32_e32 v24, 39
	v_mad_u16 v17, v17, 39, v21
	v_mad_u16 v18, v18, 39, v22
	s_waitcnt vmcnt(0) lgkmcnt(0)
	s_waitcnt_vscnt null, 0x0
	s_barrier
	v_mul_u32_u24_sdwa v16, v16, v24 dst_sel:DWORD dst_unused:UNUSED_PAD src0_sel:WORD_0 src1_sel:DWORD
	buffer_gl0_inv
	v_mul_f64 v[6:7], v[146:147], v[82:83]
	v_mul_f64 v[8:9], v[144:145], v[82:83]
	;; [unrolled: 1-line block ×20, first 2 shown]
	v_fma_f64 v[6:7], v[144:145], v[80:81], -v[6:7]
	v_fma_f64 v[8:9], v[146:147], v[80:81], v[8:9]
	v_fma_f64 v[10:11], v[148:149], v[76:77], -v[10:11]
	v_fma_f64 v[14:15], v[150:151], v[76:77], v[14:15]
	;; [unrolled: 2-line block ×3, first 2 shown]
	v_fma_f64 v[124:125], v[124:125], v[60:61], -v[164:165]
	v_fma_f64 v[132:133], v[132:133], v[72:73], -v[152:153]
	v_fma_f64 v[134:135], v[134:135], v[72:73], v[154:155]
	v_fma_f64 v[136:137], v[136:137], v[68:69], -v[156:157]
	v_fma_f64 v[138:139], v[138:139], v[68:69], v[158:159]
	v_fma_f64 v[126:127], v[126:127], v[60:61], v[166:167]
	v_fma_f64 v[128:129], v[128:129], v[56:57], -v[168:169]
	v_fma_f64 v[112:113], v[112:113], v[88:89], -v[170:171]
	;; [unrolled: 1-line block ×3, first 2 shown]
	v_fma_f64 v[114:115], v[114:115], v[88:89], v[174:175]
	v_fma_f64 v[118:119], v[118:119], v[84:85], v[176:177]
	;; [unrolled: 1-line block ×3, first 2 shown]
	v_fma_f64 v[140:141], v[140:141], v[52:53], -v[180:181]
	v_fma_f64 v[142:143], v[142:143], v[52:53], v[182:183]
	v_add_f64 v[144:145], v[104:105], v[6:7]
	v_add_f64 v[150:151], v[106:107], v[8:9]
	;; [unrolled: 1-line block ×3, first 2 shown]
	v_add_f64 v[148:149], v[8:9], -v[14:15]
	v_add_f64 v[8:9], v[8:9], v[14:15]
	v_add_f64 v[152:153], v[6:7], -v[10:11]
	v_add_f64 v[168:169], v[102:103], v[122:123]
	v_add_f64 v[162:163], v[120:121], v[124:125]
	;; [unrolled: 1-line block ×5, first 2 shown]
	v_add_f64 v[156:157], v[134:135], -v[138:139]
	v_add_f64 v[134:135], v[134:135], v[138:139]
	v_add_f64 v[164:165], v[122:123], -v[126:127]
	v_add_f64 v[122:123], v[122:123], v[126:127]
	v_add_f64 v[166:167], v[112:113], v[116:117]
	v_add_f64 v[132:133], v[132:133], -v[136:137]
	v_add_f64 v[170:171], v[114:115], v[118:119]
	v_add_f64 v[178:179], v[94:95], v[130:131]
	;; [unrolled: 1-line block ×3, first 2 shown]
	v_add_f64 v[176:177], v[130:131], -v[142:143]
	v_add_f64 v[130:131], v[130:131], v[142:143]
	v_add_f64 v[160:161], v[100:101], v[120:121]
	v_add_f64 v[172:173], v[120:121], -v[124:125]
	v_add_f64 v[120:121], v[92:93], v[128:129]
	v_add_f64 v[180:181], v[128:129], -v[140:141]
	v_add_f64 v[128:129], v[96:97], v[112:113]
	v_add_f64 v[182:183], v[98:99], v[114:115]
	v_fma_f64 v[146:147], v[146:147], -0.5, v[104:105]
	v_add_f64 v[184:185], v[114:115], -v[118:119]
	v_fma_f64 v[114:115], v[8:9], -0.5, v[106:107]
	v_add_f64 v[186:187], v[112:113], -v[116:117]
	v_fma_f64 v[188:189], v[6:7], -0.5, v[108:109]
	v_add_f64 v[6:7], v[144:145], v[10:11]
	v_fma_f64 v[10:11], v[134:135], -0.5, v[110:111]
	v_add_f64 v[8:9], v[150:151], v[14:15]
	v_fma_f64 v[14:15], v[162:163], -0.5, v[100:101]
	v_fma_f64 v[134:135], v[166:167], -0.5, v[96:97]
	v_add_f64 v[96:97], v[154:155], v[136:137]
	v_fma_f64 v[136:137], v[170:171], -0.5, v[98:99]
	v_add_f64 v[98:99], v[158:159], v[138:139]
	v_fma_f64 v[138:139], v[122:123], -0.5, v[102:103]
	v_fma_f64 v[150:151], v[174:175], -0.5, v[92:93]
	;; [unrolled: 1-line block ×3, first 2 shown]
	v_add_f64 v[100:101], v[160:161], v[124:125]
	v_add_f64 v[102:103], v[168:169], v[126:127]
	;; [unrolled: 1-line block ×6, first 2 shown]
	v_fma_f64 v[104:105], v[148:149], s[0:1], v[146:147]
	v_fma_f64 v[108:109], v[148:149], s[6:7], v[146:147]
	;; [unrolled: 1-line block ×20, first 2 shown]
	v_mul_u32_u24_sdwa v10, v19, v24 dst_sel:DWORD dst_unused:UNUSED_PAD src0_sel:WORD_0 src1_sel:DWORD
	v_add_lshl_u32 v14, v16, v20, 4
	v_lshlrev_b32_sdwa v11, v3, v17 dst_sel:DWORD dst_unused:UNUSED_PAD src0_sel:DWORD src1_sel:WORD_0
	v_lshlrev_b32_sdwa v3, v3, v18 dst_sel:DWORD dst_unused:UNUSED_PAD src0_sel:DWORD src1_sel:WORD_0
	ds_write_b128 v14, v[6:9]
	ds_write_b128 v14, v[104:107] offset:208
	v_add_lshl_u32 v10, v10, v23, 4
	buffer_store_dword v14, off, s[48:51], 0 offset:180 ; 4-byte Folded Spill
	ds_write_b128 v14, v[108:111] offset:416
	ds_write_b128 v10, v[92:95]
	ds_write_b128 v10, v[128:131] offset:208
	buffer_store_dword v10, off, s[48:51], 0 offset:176 ; 4-byte Folded Spill
	ds_write_b128 v10, v[140:143] offset:416
	ds_write_b128 v11, v[96:99]
	ds_write_b128 v11, v[112:115] offset:208
	;; [unrolled: 4-line block ×3, first 2 shown]
	buffer_store_dword v3, off, s[48:51], 0 offset:168 ; 4-byte Folded Spill
	ds_write_b128 v3, v[144:147] offset:416
	s_and_saveexec_b32 s0, vcc_lo
	s_cbranch_execz .LBB0_5
; %bb.4:
	s_clause 0x1
	buffer_load_dword v3, off, s[48:51], 0 offset:156
	buffer_load_dword v6, off, s[48:51], 0 offset:160
	s_waitcnt vmcnt(0)
	v_mad_u16 v3, v3, 39, v6
	v_mov_b32_e32 v6, 4
	v_lshlrev_b32_sdwa v3, v6, v3 dst_sel:DWORD dst_unused:UNUSED_PAD src0_sel:DWORD src1_sel:WORD_0
	ds_write_b128 v3, v[124:127]
	ds_write_b128 v3, v[132:135] offset:208
	ds_write_b128 v3, v[136:139] offset:416
.LBB0_5:
	s_or_b32 exec_lo, exec_lo, s0
	s_waitcnt lgkmcnt(0)
	s_waitcnt_vscnt null, 0x0
	s_barrier
	buffer_gl0_inv
	ds_read_b128 v[128:131], v255
	ds_read_b128 v[148:151], v255 offset:1872
	ds_read_b128 v[156:159], v255 offset:8112
	;; [unrolled: 1-line block ×11, first 2 shown]
	s_and_saveexec_b32 s0, vcc_lo
	s_cbranch_execz .LBB0_7
; %bb.6:
	ds_read_b128 v[124:127], v255 offset:7488
	ds_read_b128 v[132:135], v255 offset:15600
	;; [unrolled: 1-line block ×3, first 2 shown]
.LBB0_7:
	s_or_b32 exec_lo, exec_lo, s0
	v_mul_lo_u16 v3, 0xa5, v5
	v_and_b32_e32 v18, 0xff, v25
	v_lshrrev_b16 v3, 8, v3
	v_mul_lo_u16 v18, 0xa5, v18
	v_sub_nc_u16 v5, v4, v3
	v_lshrrev_b16 v18, 8, v18
	v_lshrrev_b16 v5, 1, v5
	v_sub_nc_u16 v19, v25, v18
	v_and_b32_e32 v5, 0x7f, v5
	v_lshrrev_b16 v19, 1, v19
	v_add_nc_u16 v3, v5, v3
	v_mov_b32_e32 v5, 0xa41b
	v_and_b32_e32 v19, 0x7f, v19
	v_lshrrev_b16 v3, 5, v3
	v_add_nc_u16 v18, v19, v18
	v_and_b32_e32 v8, 7, v3
	v_lshrrev_b16 v18, 5, v18
	v_mul_lo_u16 v3, v8, 39
	v_and_b32_e32 v18, 7, v18
	v_sub_nc_u16 v3, v4, v3
	v_mul_lo_u16 v19, v18, 39
	v_and_b32_e32 v9, 0xff, v3
	v_sub_nc_u16 v19, v25, v19
	v_lshlrev_b32_e32 v3, 5, v9
	s_clause 0x1
	global_load_dwordx4 v[92:95], v3, s[2:3] offset:416
	global_load_dwordx4 v[96:99], v3, s[2:3] offset:432
	v_and_b32_e32 v19, 0xff, v19
	v_lshlrev_b32_e32 v20, 5, v19
	s_waitcnt vmcnt(1) lgkmcnt(8)
	v_mul_f64 v[3:4], v[114:115], v[94:95]
	v_fma_f64 v[14:15], v[112:113], v[92:93], -v[3:4]
	v_mul_f64 v[3:4], v[112:113], v[94:95]
	v_fma_f64 v[160:161], v[114:115], v[92:93], v[3:4]
	s_waitcnt vmcnt(0) lgkmcnt(6)
	v_mul_f64 v[3:4], v[110:111], v[98:99]
	v_fma_f64 v[162:163], v[108:109], v[96:97], -v[3:4]
	v_mul_f64 v[3:4], v[108:109], v[98:99]
	v_fma_f64 v[164:165], v[110:111], v[96:97], v[3:4]
	v_mul_u32_u24_sdwa v3, v1, v5 dst_sel:DWORD dst_unused:UNUSED_PAD src0_sel:WORD_0 src1_sel:DWORD
	v_lshrrev_b32_e32 v3, 16, v3
	v_sub_nc_u16 v4, v1, v3
	v_lshrrev_b16 v4, 1, v4
	v_add_nc_u16 v3, v4, v3
	v_lshrrev_b16 v16, 5, v3
	v_mul_lo_u16 v3, v16, 39
	v_sub_nc_u16 v17, v1, v3
	v_lshlrev_b16 v1, 5, v17
	v_and_b32_e32 v1, 0xffff, v1
	v_add_co_u32 v3, s0, s2, v1
	v_add_co_ci_u32_e64 v4, null, s3, 0, s0
	s_clause 0x1
	global_load_dwordx4 v[108:111], v[3:4], off offset:416
	global_load_dwordx4 v[112:115], v[3:4], off offset:432
	v_mul_u32_u24_sdwa v1, v2, v5 dst_sel:DWORD dst_unused:UNUSED_PAD src0_sel:WORD_0 src1_sel:DWORD
	v_lshrrev_b32_e32 v1, 16, v1
	s_waitcnt vmcnt(1) lgkmcnt(3)
	v_mul_f64 v[3:4], v[122:123], v[110:111]
	v_fma_f64 v[166:167], v[120:121], v[108:109], -v[3:4]
	v_mul_f64 v[3:4], v[120:121], v[110:111]
	v_fma_f64 v[168:169], v[122:123], v[108:109], v[3:4]
	s_waitcnt vmcnt(0) lgkmcnt(1)
	v_mul_f64 v[3:4], v[118:119], v[114:115]
	v_fma_f64 v[170:171], v[116:117], v[112:113], -v[3:4]
	v_mul_f64 v[3:4], v[116:117], v[114:115]
	v_fma_f64 v[172:173], v[118:119], v[112:113], v[3:4]
	v_sub_nc_u16 v3, v2, v1
	v_lshrrev_b16 v3, 1, v3
	v_add_nc_u16 v1, v3, v1
	v_lshrrev_b16 v10, 5, v1
	v_mul_lo_u16 v1, v10, 39
	v_sub_nc_u16 v11, v2, v1
	v_lshlrev_b16 v1, 5, v11
	v_and_b32_e32 v1, 0xffff, v1
	v_add_co_u32 v1, s0, s2, v1
	v_add_co_ci_u32_e64 v2, null, s3, 0, s0
	s_clause 0x1
	global_load_dwordx4 v[116:119], v[1:2], off offset:416
	global_load_dwordx4 v[120:123], v[1:2], off offset:432
	s_waitcnt vmcnt(1)
	v_mul_f64 v[1:2], v[106:107], v[118:119]
	v_fma_f64 v[174:175], v[104:105], v[116:117], -v[1:2]
	v_mul_f64 v[1:2], v[104:105], v[118:119]
	v_fma_f64 v[176:177], v[106:107], v[116:117], v[1:2]
	s_waitcnt vmcnt(0) lgkmcnt(0)
	v_mul_f64 v[1:2], v[102:103], v[122:123]
	v_fma_f64 v[178:179], v[100:101], v[120:121], -v[1:2]
	v_mul_f64 v[1:2], v[100:101], v[122:123]
	v_fma_f64 v[180:181], v[102:103], v[120:121], v[1:2]
	v_mul_u32_u24_sdwa v1, v0, v5 dst_sel:DWORD dst_unused:UNUSED_PAD src0_sel:WORD_0 src1_sel:DWORD
	v_lshrrev_b32_e32 v1, 16, v1
	v_sub_nc_u16 v2, v0, v1
	v_lshrrev_b16 v2, 1, v2
	v_add_nc_u16 v1, v2, v1
	v_lshrrev_b16 v1, 5, v1
	v_mul_lo_u16 v1, v1, 39
	v_sub_nc_u16 v0, v0, v1
	buffer_store_dword v0, off, s[48:51], 0 offset:164 ; 4-byte Folded Spill
	v_lshlrev_b16 v0, 5, v0
	v_and_b32_e32 v0, 0xffff, v0
	v_add_co_u32 v0, s0, s2, v0
	v_add_co_ci_u32_e64 v1, null, s3, 0, s0
	s_clause 0x1
	global_load_dwordx4 v[100:103], v[0:1], off offset:416
	global_load_dwordx4 v[104:107], v[0:1], off offset:432
	s_mov_b32 s0, 0xe8584caa
	s_mov_b32 s1, 0x3febb67a
	s_mov_b32 s6, s0
	s_waitcnt vmcnt(1)
	v_mul_f64 v[2:3], v[132:133], v[102:103]
	v_mul_f64 v[0:1], v[134:135], v[102:103]
	s_waitcnt vmcnt(0)
	v_mul_f64 v[4:5], v[136:137], v[106:107]
	v_fma_f64 v[6:7], v[134:135], v[100:101], v[2:3]
	v_mul_f64 v[2:3], v[138:139], v[106:107]
	v_fma_f64 v[0:1], v[132:133], v[100:101], -v[0:1]
	v_fma_f64 v[4:5], v[138:139], v[104:105], v[4:5]
	v_fma_f64 v[2:3], v[136:137], v[104:105], -v[2:3]
	s_clause 0x1
	global_load_dwordx4 v[132:135], v20, s[2:3] offset:416
	global_load_dwordx4 v[136:139], v20, s[2:3] offset:432
	s_waitcnt vmcnt(0)
	s_waitcnt_vscnt null, 0x0
	s_barrier
	buffer_gl0_inv
	v_mul_f64 v[182:183], v[158:159], v[134:135]
	v_fma_f64 v[182:183], v[156:157], v[132:133], -v[182:183]
	v_mul_f64 v[156:157], v[156:157], v[134:135]
	v_fma_f64 v[184:185], v[158:159], v[132:133], v[156:157]
	v_mul_f64 v[156:157], v[154:155], v[138:139]
	v_fma_f64 v[186:187], v[152:153], v[136:137], -v[156:157]
	v_mul_f64 v[152:153], v[152:153], v[138:139]
	v_add_f64 v[156:157], v[160:161], -v[164:165]
	v_fma_f64 v[188:189], v[154:155], v[136:137], v[152:153]
	v_add_f64 v[152:153], v[14:15], v[162:163]
	v_fma_f64 v[154:155], v[152:153], -0.5, v[148:149]
	v_add_f64 v[152:153], v[160:161], v[164:165]
	v_add_f64 v[148:149], v[148:149], v[14:15]
	v_add_f64 v[14:15], v[14:15], -v[162:163]
	v_fma_f64 v[158:159], v[152:153], -0.5, v[150:151]
	v_fma_f64 v[152:153], v[156:157], s[0:1], v[154:155]
	v_fma_f64 v[156:157], v[156:157], s[6:7], v[154:155]
	v_add_f64 v[150:151], v[150:151], v[160:161]
	v_add_f64 v[148:149], v[148:149], v[162:163]
	;; [unrolled: 1-line block ×3, first 2 shown]
	v_add_f64 v[162:163], v[168:169], -v[172:173]
	v_fma_f64 v[154:155], v[14:15], s[6:7], v[158:159]
	v_fma_f64 v[158:159], v[14:15], s[0:1], v[158:159]
	v_add_f64 v[14:15], v[166:167], v[170:171]
	v_add_f64 v[150:151], v[150:151], v[164:165]
	v_fma_f64 v[190:191], v[160:161], -0.5, v[146:147]
	v_add_f64 v[146:147], v[146:147], v[168:169]
	v_add_f64 v[168:169], v[176:177], v[180:181]
	v_fma_f64 v[14:15], v[14:15], -0.5, v[144:145]
	v_add_f64 v[144:145], v[144:145], v[166:167]
	v_add_f64 v[166:167], v[166:167], -v[170:171]
	v_add_f64 v[146:147], v[146:147], v[172:173]
	v_fma_f64 v[160:161], v[162:163], s[0:1], v[14:15]
	v_fma_f64 v[164:165], v[162:163], s[6:7], v[14:15]
	v_add_f64 v[14:15], v[174:175], v[178:179]
	v_add_f64 v[144:145], v[144:145], v[170:171]
	v_add_f64 v[170:171], v[176:177], -v[180:181]
	v_fma_f64 v[162:163], v[166:167], s[6:7], v[190:191]
	v_fma_f64 v[166:167], v[166:167], s[0:1], v[190:191]
	v_fma_f64 v[190:191], v[168:169], -0.5, v[142:143]
	v_add_f64 v[142:143], v[142:143], v[176:177]
	v_add_f64 v[176:177], v[184:185], v[188:189]
	v_fma_f64 v[14:15], v[14:15], -0.5, v[140:141]
	v_add_f64 v[140:141], v[140:141], v[174:175]
	v_add_f64 v[174:175], v[174:175], -v[178:179]
	v_add_f64 v[142:143], v[142:143], v[180:181]
	v_fma_f64 v[180:181], v[176:177], -0.5, v[130:131]
	v_add_f64 v[130:131], v[130:131], v[184:185]
	v_fma_f64 v[168:169], v[170:171], s[0:1], v[14:15]
	v_fma_f64 v[172:173], v[170:171], s[6:7], v[14:15]
	v_add_f64 v[14:15], v[182:183], v[186:187]
	v_add_f64 v[140:141], v[140:141], v[178:179]
	v_add_f64 v[178:179], v[184:185], -v[188:189]
	v_fma_f64 v[170:171], v[174:175], s[6:7], v[190:191]
	v_fma_f64 v[174:175], v[174:175], s[0:1], v[190:191]
	v_add_f64 v[130:131], v[130:131], v[188:189]
	v_fma_f64 v[14:15], v[14:15], -0.5, v[128:129]
	v_add_f64 v[128:129], v[128:129], v[182:183]
	v_add_f64 v[182:183], v[182:183], -v[186:187]
	v_fma_f64 v[176:177], v[178:179], s[0:1], v[14:15]
	v_fma_f64 v[188:189], v[178:179], s[6:7], v[14:15]
	v_add_f64 v[14:15], v[0:1], v[2:3]
	v_fma_f64 v[178:179], v[182:183], s[6:7], v[180:181]
	v_fma_f64 v[190:191], v[182:183], s[0:1], v[180:181]
	v_add_f64 v[180:181], v[6:7], v[4:5]
	v_add_f64 v[182:183], v[6:7], -v[4:5]
	v_add_f64 v[128:129], v[128:129], v[186:187]
	v_fma_f64 v[14:15], v[14:15], -0.5, v[124:125]
	v_fma_f64 v[186:187], v[180:181], -0.5, v[126:127]
	v_fma_f64 v[180:181], v[182:183], s[0:1], v[14:15]
	v_fma_f64 v[184:185], v[182:183], s[6:7], v[14:15]
	v_add_f64 v[14:15], v[0:1], -v[2:3]
	v_fma_f64 v[182:183], v[14:15], s[6:7], v[186:187]
	v_fma_f64 v[186:187], v[14:15], s[0:1], v[186:187]
	v_mov_b32_e32 v14, 0x75
	v_mul_u32_u24_sdwa v15, v18, v14 dst_sel:DWORD dst_unused:UNUSED_PAD src0_sel:WORD_0 src1_sel:DWORD
	v_mul_u32_u24_sdwa v8, v8, v14 dst_sel:DWORD dst_unused:UNUSED_PAD src0_sel:WORD_0 src1_sel:DWORD
	v_add_lshl_u32 v15, v15, v19, 4
	v_add_lshl_u32 v8, v8, v9, 4
	ds_write_b128 v15, v[128:131]
	ds_write_b128 v15, v[176:179] offset:624
	buffer_store_dword v15, off, s[48:51], 0 offset:188 ; 4-byte Folded Spill
	ds_write_b128 v15, v[188:191] offset:1248
	ds_write_b128 v8, v[148:151]
	ds_write_b128 v8, v[152:155] offset:624
	buffer_store_dword v8, off, s[48:51], 0 offset:184 ; 4-byte Folded Spill
	ds_write_b128 v8, v[156:159] offset:1248
	v_mad_u16 v9, 0x75, v16, v17
	v_mov_b32_e32 v8, 4
	v_lshlrev_b32_sdwa v9, v8, v9 dst_sel:DWORD dst_unused:UNUSED_PAD src0_sel:DWORD src1_sel:WORD_0
	ds_write_b128 v9, v[144:147]
	ds_write_b128 v9, v[160:163] offset:624
	buffer_store_dword v9, off, s[48:51], 0 offset:192 ; 4-byte Folded Spill
	ds_write_b128 v9, v[164:167] offset:1248
	v_mad_u16 v9, 0x75, v10, v11
	v_lshlrev_b32_sdwa v9, v8, v9 dst_sel:DWORD dst_unused:UNUSED_PAD src0_sel:DWORD src1_sel:WORD_0
	ds_write_b128 v9, v[140:143]
	ds_write_b128 v9, v[168:171] offset:624
	buffer_store_dword v9, off, s[48:51], 0 offset:196 ; 4-byte Folded Spill
	ds_write_b128 v9, v[172:175] offset:1248
	s_and_saveexec_b32 s0, vcc_lo
	s_cbranch_execz .LBB0_9
; %bb.8:
	v_add_f64 v[0:1], v[124:125], v[0:1]
	v_add_f64 v[6:7], v[126:127], v[6:7]
	;; [unrolled: 1-line block ×3, first 2 shown]
	buffer_load_dword v0, off, s[48:51], 0 offset:164 ; 4-byte Folded Reload
	v_add_f64 v[4:5], v[6:7], v[4:5]
	s_waitcnt vmcnt(0)
	v_lshlrev_b32_sdwa v0, v8, v0 dst_sel:DWORD dst_unused:UNUSED_PAD src0_sel:DWORD src1_sel:WORD_0
	ds_write_b128 v0, v[180:183] offset:23088
	ds_write_b128 v0, v[2:5] offset:22464
	;; [unrolled: 1-line block ×3, first 2 shown]
.LBB0_9:
	s_or_b32 exec_lo, exec_lo, s0
	v_mad_u64_u32 v[218:219], null, 0xc0, v25, s[2:3]
	s_waitcnt lgkmcnt(0)
	s_waitcnt_vscnt null, 0x0
	s_barrier
	buffer_gl0_inv
	ds_read_b128 v[192:195], v255
	ds_read_b128 v[0:3], v255 offset:1872
	ds_read_b128 v[4:7], v255 offset:3744
	;; [unrolled: 1-line block ×12, first 2 shown]
	buffer_store_dword v25, off, s[48:51], 0 offset:8 ; 4-byte Folded Spill
	s_mov_b32 s24, 0x4267c47c
	s_clause 0x3
	global_load_dwordx4 v[124:127], v[218:219], off offset:1712
	global_load_dwordx4 v[128:131], v[218:219], off offset:1696
	;; [unrolled: 1-line block ×4, first 2 shown]
	s_mov_b32 s18, 0x42a4c3d2
	s_mov_b32 s6, 0x66966769
	;; [unrolled: 1-line block ×31, first 2 shown]
	s_waitcnt vmcnt(0) lgkmcnt(11)
	v_mul_f64 v[148:149], v[2:3], v[162:163]
	v_fma_f64 v[241:242], v[0:1], v[160:161], -v[148:149]
	v_mul_f64 v[0:1], v[0:1], v[162:163]
	v_fma_f64 v[243:244], v[2:3], v[160:161], v[0:1]
	s_waitcnt lgkmcnt(10)
	v_mul_f64 v[0:1], v[6:7], v[142:143]
	v_fma_f64 v[224:225], v[4:5], v[140:141], -v[0:1]
	v_mul_f64 v[0:1], v[4:5], v[142:143]
	v_fma_f64 v[222:223], v[6:7], v[140:141], v[0:1]
	s_waitcnt lgkmcnt(9)
	v_mul_f64 v[0:1], v[10:11], v[130:131]
	v_fma_f64 v[2:3], v[8:9], v[128:129], -v[0:1]
	v_mul_f64 v[0:1], v[8:9], v[130:131]
	v_add_f64 v[8:9], v[192:193], v[241:242]
	v_fma_f64 v[216:217], v[10:11], v[128:129], v[0:1]
	s_waitcnt lgkmcnt(8)
	v_mul_f64 v[0:1], v[146:147], v[126:127]
	v_add_f64 v[10:11], v[194:195], v[243:244]
	v_add_f64 v[8:9], v[8:9], v[224:225]
	v_fma_f64 v[214:215], v[144:145], v[124:125], -v[0:1]
	v_mul_f64 v[0:1], v[144:145], v[126:127]
	v_add_f64 v[10:11], v[10:11], v[222:223]
	v_add_f64 v[8:9], v[8:9], v[2:3]
	v_fma_f64 v[208:209], v[146:147], v[124:125], v[0:1]
	s_clause 0x3
	global_load_dwordx4 v[144:147], v[218:219], off offset:1776
	global_load_dwordx4 v[148:151], v[218:219], off offset:1760
	;; [unrolled: 1-line block ×4, first 2 shown]
	v_add_f64 v[10:11], v[10:11], v[216:217]
	v_add_f64 v[8:9], v[8:9], v[214:215]
	;; [unrolled: 1-line block ×3, first 2 shown]
	s_waitcnt vmcnt(0) lgkmcnt(7)
	v_mul_f64 v[0:1], v[166:167], v[158:159]
	v_fma_f64 v[210:211], v[164:165], v[156:157], -v[0:1]
	v_mul_f64 v[0:1], v[164:165], v[158:159]
	v_add_f64 v[8:9], v[8:9], v[210:211]
	v_fma_f64 v[204:205], v[166:167], v[156:157], v[0:1]
	s_waitcnt lgkmcnt(6)
	v_mul_f64 v[0:1], v[170:171], v[154:155]
	v_add_f64 v[10:11], v[10:11], v[204:205]
	v_fma_f64 v[200:201], v[168:169], v[152:153], -v[0:1]
	v_mul_f64 v[0:1], v[168:169], v[154:155]
	v_add_f64 v[8:9], v[8:9], v[200:201]
	v_fma_f64 v[196:197], v[170:171], v[152:153], v[0:1]
	s_waitcnt lgkmcnt(5)
	v_mul_f64 v[0:1], v[174:175], v[150:151]
	v_add_f64 v[10:11], v[10:11], v[196:197]
	;; [unrolled: 7-line block ×3, first 2 shown]
	v_fma_f64 v[212:213], v[176:177], v[144:145], -v[0:1]
	v_mul_f64 v[0:1], v[176:177], v[146:147]
	v_add_f64 v[8:9], v[8:9], v[212:213]
	v_fma_f64 v[206:207], v[178:179], v[144:145], v[0:1]
	s_clause 0x3
	global_load_dwordx4 v[172:175], v[218:219], off offset:1840
	global_load_dwordx4 v[168:171], v[218:219], off offset:1824
	;; [unrolled: 1-line block ×4, first 2 shown]
	v_add_f64 v[10:11], v[10:11], v[206:207]
	s_waitcnt vmcnt(3) lgkmcnt(0)
	v_mul_f64 v[6:7], v[236:237], v[174:175]
	s_waitcnt vmcnt(0)
	v_mul_f64 v[4:5], v[188:189], v[178:179]
	v_mul_f64 v[0:1], v[190:191], v[178:179]
	v_fma_f64 v[6:7], v[238:239], v[172:173], v[6:7]
	v_fma_f64 v[218:219], v[190:191], v[176:177], v[4:5]
	v_mul_f64 v[4:5], v[230:231], v[166:167]
	v_fma_f64 v[0:1], v[188:189], v[176:177], -v[0:1]
	v_add_f64 v[10:11], v[10:11], v[218:219]
	v_fma_f64 v[226:227], v[228:229], v[164:165], -v[4:5]
	v_mul_f64 v[4:5], v[228:229], v[166:167]
	v_add_f64 v[8:9], v[8:9], v[0:1]
	v_fma_f64 v[220:221], v[230:231], v[164:165], v[4:5]
	v_mul_f64 v[4:5], v[234:235], v[170:171]
	v_add_f64 v[8:9], v[8:9], v[226:227]
	v_add_f64 v[10:11], v[10:11], v[220:221]
	v_fma_f64 v[230:231], v[232:233], v[168:169], -v[4:5]
	v_mul_f64 v[4:5], v[232:233], v[170:171]
	v_add_f64 v[8:9], v[8:9], v[230:231]
	v_fma_f64 v[228:229], v[234:235], v[168:169], v[4:5]
	v_mul_f64 v[4:5], v[238:239], v[174:175]
	v_add_f64 v[10:11], v[10:11], v[228:229]
	v_fma_f64 v[4:5], v[236:237], v[172:173], -v[4:5]
	v_add_f64 v[190:191], v[10:11], v[6:7]
	v_add_f64 v[10:11], v[243:244], v[6:7]
	v_add_f64 v[6:7], v[243:244], -v[6:7]
	v_add_f64 v[188:189], v[8:9], v[4:5]
	v_add_f64 v[8:9], v[241:242], v[4:5]
	v_add_f64 v[4:5], v[241:242], -v[4:5]
	v_mul_f64 v[232:233], v[6:7], s[24:25]
	v_mul_f64 v[241:242], v[6:7], s[18:19]
	v_mul_f64 v[249:250], v[6:7], s[6:7]
	v_mul_f64 v[16:17], v[6:7], s[12:13]
	v_mul_f64 v[24:25], v[6:7], s[26:27]
	v_mul_f64 v[6:7], v[6:7], s[30:31]
	v_mul_f64 v[236:237], v[4:5], s[24:25]
	v_mul_f64 v[245:246], v[4:5], s[18:19]
	v_mul_f64 v[253:254], v[4:5], s[6:7]
	v_mul_f64 v[20:21], v[4:5], s[12:13]
	v_mul_f64 v[28:29], v[4:5], s[26:27]
	v_mul_f64 v[4:5], v[4:5], s[30:31]
	v_fma_f64 v[234:235], v[8:9], s[22:23], -v[232:233]
	v_fma_f64 v[232:233], v[8:9], s[22:23], v[232:233]
	v_fma_f64 v[243:244], v[8:9], s[16:17], -v[241:242]
	v_fma_f64 v[241:242], v[8:9], s[16:17], v[241:242]
	;; [unrolled: 2-line block ×6, first 2 shown]
	v_fma_f64 v[238:239], v[10:11], s[22:23], v[236:237]
	v_fma_f64 v[236:237], v[10:11], s[22:23], -v[236:237]
	v_fma_f64 v[247:248], v[10:11], s[16:17], v[245:246]
	v_fma_f64 v[245:246], v[10:11], s[16:17], -v[245:246]
	;; [unrolled: 2-line block ×5, first 2 shown]
	v_add_f64 v[234:235], v[192:193], v[234:235]
	v_add_f64 v[232:233], v[192:193], v[232:233]
	;; [unrolled: 1-line block ×11, first 2 shown]
	v_fma_f64 v[34:35], v[10:11], s[34:35], v[4:5]
	v_add_f64 v[6:7], v[192:193], v[6:7]
	v_fma_f64 v[4:5], v[10:11], s[34:35], -v[4:5]
	v_add_f64 v[192:193], v[224:225], -v[230:231]
	v_add_f64 v[238:239], v[194:195], v[238:239]
	v_add_f64 v[236:237], v[194:195], v[236:237]
	;; [unrolled: 1-line block ×14, first 2 shown]
	v_add_f64 v[194:195], v[222:223], -v[228:229]
	v_mul_f64 v[228:229], v[192:193], s[18:19]
	v_mul_f64 v[222:223], v[194:195], s[18:19]
	v_fma_f64 v[230:231], v[10:11], s[16:17], v[228:229]
	v_fma_f64 v[228:229], v[10:11], s[16:17], -v[228:229]
	v_fma_f64 v[224:225], v[8:9], s[16:17], -v[222:223]
	v_fma_f64 v[222:223], v[8:9], s[16:17], v[222:223]
	v_add_f64 v[228:229], v[228:229], v[236:237]
	v_mul_f64 v[236:237], v[192:193], s[12:13]
	v_add_f64 v[230:231], v[230:231], v[238:239]
	v_add_f64 v[224:225], v[224:225], v[234:235]
	;; [unrolled: 1-line block ×3, first 2 shown]
	v_mul_f64 v[232:233], v[194:195], s[12:13]
	v_fma_f64 v[238:239], v[10:11], s[14:15], v[236:237]
	v_fma_f64 v[236:237], v[10:11], s[14:15], -v[236:237]
	v_fma_f64 v[234:235], v[8:9], s[14:15], -v[232:233]
	v_fma_f64 v[232:233], v[8:9], s[14:15], v[232:233]
	v_add_f64 v[236:237], v[236:237], v[245:246]
	v_mul_f64 v[245:246], v[192:193], s[30:31]
	v_add_f64 v[238:239], v[238:239], v[247:248]
	v_add_f64 v[234:235], v[234:235], v[243:244]
	;; [unrolled: 1-line block ×3, first 2 shown]
	v_mul_f64 v[241:242], v[194:195], s[30:31]
	v_fma_f64 v[247:248], v[10:11], s[34:35], v[245:246]
	v_fma_f64 v[245:246], v[10:11], s[34:35], -v[245:246]
	v_fma_f64 v[243:244], v[8:9], s[34:35], -v[241:242]
	v_add_f64 v[14:15], v[247:248], v[14:15]
	v_fma_f64 v[241:242], v[8:9], s[34:35], v[241:242]
	v_mul_f64 v[247:248], v[194:195], s[36:37]
	v_add_f64 v[245:246], v[245:246], v[253:254]
	v_add_f64 v[243:244], v[243:244], v[251:252]
	;; [unrolled: 1-line block ×3, first 2 shown]
	v_fma_f64 v[249:250], v[8:9], s[28:29], -v[247:248]
	v_fma_f64 v[247:248], v[8:9], s[28:29], v[247:248]
	v_add_f64 v[18:19], v[249:250], v[18:19]
	v_mul_f64 v[249:250], v[192:193], s[36:37]
	v_add_f64 v[16:17], v[247:248], v[16:17]
	v_fma_f64 v[247:248], v[10:11], s[28:29], -v[249:250]
	v_fma_f64 v[251:252], v[10:11], s[28:29], v[249:250]
	v_add_f64 v[20:21], v[247:248], v[20:21]
	v_mul_f64 v[247:248], v[194:195], s[20:21]
	v_mul_f64 v[194:195], v[194:195], s[40:41]
	v_add_f64 v[22:23], v[251:252], v[22:23]
	v_fma_f64 v[249:250], v[8:9], s[2:3], -v[247:248]
	v_fma_f64 v[247:248], v[8:9], s[2:3], v[247:248]
	v_add_f64 v[26:27], v[249:250], v[26:27]
	v_mul_f64 v[249:250], v[192:193], s[20:21]
	v_add_f64 v[24:25], v[247:248], v[24:25]
	v_mul_f64 v[192:193], v[192:193], s[40:41]
	v_fma_f64 v[247:248], v[10:11], s[2:3], -v[249:250]
	v_fma_f64 v[251:252], v[10:11], s[2:3], v[249:250]
	v_add_f64 v[249:250], v[214:215], -v[0:1]
	v_add_f64 v[28:29], v[247:248], v[28:29]
	v_fma_f64 v[247:248], v[8:9], s[22:23], -v[194:195]
	v_fma_f64 v[8:9], v[8:9], s[22:23], v[194:195]
	v_add_f64 v[30:31], v[251:252], v[30:31]
	v_add_f64 v[32:33], v[247:248], v[32:33]
	v_fma_f64 v[247:248], v[10:11], s[22:23], v[192:193]
	v_add_f64 v[6:7], v[8:9], v[6:7]
	v_fma_f64 v[8:9], v[10:11], s[22:23], -v[192:193]
	v_add_f64 v[192:193], v[216:217], -v[220:221]
	v_add_f64 v[10:11], v[216:217], v[220:221]
	v_add_f64 v[34:35], v[247:248], v[34:35]
	v_add_f64 v[247:248], v[208:209], -v[218:219]
	v_add_f64 v[4:5], v[8:9], v[4:5]
	v_add_f64 v[8:9], v[2:3], v[226:227]
	v_add_f64 v[2:3], v[2:3], -v[226:227]
	v_mul_f64 v[194:195], v[192:193], s[6:7]
	v_mul_f64 v[220:221], v[2:3], s[6:7]
	v_fma_f64 v[216:217], v[8:9], s[2:3], -v[194:195]
	v_fma_f64 v[194:195], v[8:9], s[2:3], v[194:195]
	v_add_f64 v[216:217], v[216:217], v[224:225]
	v_fma_f64 v[224:225], v[10:11], s[2:3], v[220:221]
	v_fma_f64 v[220:221], v[10:11], s[2:3], -v[220:221]
	v_add_f64 v[194:195], v[194:195], v[222:223]
	v_mul_f64 v[222:223], v[192:193], s[30:31]
	v_add_f64 v[224:225], v[224:225], v[230:231]
	v_add_f64 v[220:221], v[220:221], v[228:229]
	v_mul_f64 v[228:229], v[2:3], s[30:31]
	v_fma_f64 v[226:227], v[8:9], s[34:35], -v[222:223]
	v_fma_f64 v[222:223], v[8:9], s[34:35], v[222:223]
	v_fma_f64 v[230:231], v[10:11], s[34:35], v[228:229]
	v_fma_f64 v[228:229], v[10:11], s[34:35], -v[228:229]
	v_add_f64 v[222:223], v[222:223], v[232:233]
	v_mul_f64 v[232:233], v[192:193], s[38:39]
	v_add_f64 v[226:227], v[226:227], v[234:235]
	v_add_f64 v[230:231], v[230:231], v[238:239]
	;; [unrolled: 1-line block ×3, first 2 shown]
	v_mul_f64 v[236:237], v[2:3], s[38:39]
	v_fma_f64 v[234:235], v[8:9], s[14:15], -v[232:233]
	v_fma_f64 v[232:233], v[8:9], s[14:15], v[232:233]
	v_fma_f64 v[238:239], v[10:11], s[14:15], v[236:237]
	v_add_f64 v[234:235], v[234:235], v[243:244]
	v_add_f64 v[232:233], v[232:233], v[241:242]
	v_fma_f64 v[236:237], v[10:11], s[14:15], -v[236:237]
	v_add_f64 v[14:15], v[238:239], v[14:15]
	v_mul_f64 v[238:239], v[192:193], s[40:41]
	v_add_f64 v[236:237], v[236:237], v[245:246]
	v_fma_f64 v[241:242], v[8:9], s[22:23], -v[238:239]
	v_fma_f64 v[238:239], v[8:9], s[22:23], v[238:239]
	v_add_f64 v[18:19], v[241:242], v[18:19]
	v_mul_f64 v[241:242], v[2:3], s[40:41]
	v_add_f64 v[16:17], v[238:239], v[16:17]
	v_fma_f64 v[238:239], v[10:11], s[22:23], -v[241:242]
	v_fma_f64 v[243:244], v[10:11], s[22:23], v[241:242]
	v_add_f64 v[20:21], v[238:239], v[20:21]
	v_mul_f64 v[238:239], v[192:193], s[18:19]
	v_mul_f64 v[192:193], v[192:193], s[26:27]
	v_add_f64 v[22:23], v[243:244], v[22:23]
	v_fma_f64 v[241:242], v[8:9], s[16:17], -v[238:239]
	v_fma_f64 v[238:239], v[8:9], s[16:17], v[238:239]
	v_add_f64 v[26:27], v[241:242], v[26:27]
	v_mul_f64 v[241:242], v[2:3], s[18:19]
	v_add_f64 v[24:25], v[238:239], v[24:25]
	v_mul_f64 v[2:3], v[2:3], s[26:27]
	v_fma_f64 v[238:239], v[10:11], s[16:17], -v[241:242]
	v_fma_f64 v[243:244], v[10:11], s[16:17], v[241:242]
	v_add_f64 v[28:29], v[238:239], v[28:29]
	v_fma_f64 v[238:239], v[8:9], s[28:29], -v[192:193]
	v_fma_f64 v[8:9], v[8:9], s[28:29], v[192:193]
	v_mul_f64 v[192:193], v[247:248], s[12:13]
	v_add_f64 v[30:31], v[243:244], v[30:31]
	v_add_f64 v[32:33], v[238:239], v[32:33]
	;; [unrolled: 1-line block ×4, first 2 shown]
	v_fma_f64 v[238:239], v[10:11], s[28:29], v[2:3]
	v_fma_f64 v[2:3], v[10:11], s[28:29], -v[2:3]
	v_add_f64 v[10:11], v[208:209], v[218:219]
	v_mul_f64 v[208:209], v[249:250], s[12:13]
	v_mul_f64 v[218:219], v[249:250], s[36:37]
	v_fma_f64 v[0:1], v[8:9], s[14:15], -v[192:193]
	v_fma_f64 v[192:193], v[8:9], s[14:15], v[192:193]
	v_add_f64 v[4:5], v[2:3], v[4:5]
	v_add_f64 v[34:35], v[238:239], v[34:35]
	v_fma_f64 v[2:3], v[10:11], s[14:15], v[208:209]
	v_fma_f64 v[214:215], v[10:11], s[28:29], v[218:219]
	v_fma_f64 v[218:219], v[10:11], s[28:29], -v[218:219]
	v_add_f64 v[0:1], v[0:1], v[216:217]
	v_mul_f64 v[216:217], v[247:248], s[36:37]
	v_add_f64 v[192:193], v[192:193], v[194:195]
	v_fma_f64 v[194:195], v[10:11], s[14:15], -v[208:209]
	v_add_f64 v[2:3], v[2:3], v[224:225]
	v_mul_f64 v[224:225], v[247:248], s[40:41]
	v_add_f64 v[218:219], v[218:219], v[228:229]
	v_add_f64 v[214:215], v[214:215], v[230:231]
	v_fma_f64 v[208:209], v[8:9], s[28:29], -v[216:217]
	v_fma_f64 v[216:217], v[8:9], s[28:29], v[216:217]
	v_add_f64 v[194:195], v[194:195], v[220:221]
	v_fma_f64 v[220:221], v[8:9], s[22:23], -v[224:225]
	v_add_f64 v[208:209], v[208:209], v[226:227]
	v_mul_f64 v[226:227], v[249:250], s[40:41]
	v_add_f64 v[216:217], v[216:217], v[222:223]
	v_add_f64 v[220:221], v[220:221], v[234:235]
	v_fma_f64 v[222:223], v[10:11], s[22:23], v[226:227]
	v_add_f64 v[222:223], v[222:223], v[14:15]
	v_fma_f64 v[14:15], v[8:9], s[22:23], v[224:225]
	v_add_f64 v[224:225], v[14:15], v[232:233]
	v_fma_f64 v[14:15], v[10:11], s[22:23], -v[226:227]
	v_add_f64 v[226:227], v[14:15], v[236:237]
	v_mul_f64 v[14:15], v[247:248], s[6:7]
	v_fma_f64 v[228:229], v[8:9], s[2:3], -v[14:15]
	v_fma_f64 v[14:15], v[8:9], s[2:3], v[14:15]
	v_add_f64 v[228:229], v[228:229], v[18:19]
	v_mul_f64 v[18:19], v[249:250], s[6:7]
	v_add_f64 v[234:235], v[14:15], v[16:17]
	v_fma_f64 v[14:15], v[10:11], s[2:3], -v[18:19]
	v_fma_f64 v[230:231], v[10:11], s[2:3], v[18:19]
	v_add_f64 v[236:237], v[14:15], v[20:21]
	v_mul_f64 v[14:15], v[247:248], s[44:45]
	v_add_f64 v[232:233], v[230:231], v[22:23]
	;; [unrolled: 5-line block ×4, first 2 shown]
	v_fma_f64 v[16:17], v[8:9], s[16:17], -v[14:15]
	v_fma_f64 v[8:9], v[8:9], s[16:17], v[14:15]
	v_add_f64 v[14:15], v[204:205], -v[206:207]
	v_add_f64 v[247:248], v[16:17], v[32:33]
	v_mul_f64 v[16:17], v[249:250], s[42:43]
	v_add_f64 v[251:252], v[8:9], v[6:7]
	v_mul_f64 v[8:9], v[14:15], s[26:27]
	v_fma_f64 v[6:7], v[10:11], s[16:17], -v[16:17]
	v_fma_f64 v[18:19], v[10:11], s[16:17], v[16:17]
	v_add_f64 v[253:254], v[6:7], v[4:5]
	v_add_f64 v[6:7], v[210:211], v[212:213]
	v_add_f64 v[210:211], v[210:211], -v[212:213]
	v_add_f64 v[4:5], v[204:205], v[206:207]
	v_add_f64 v[249:250], v[18:19], v[34:35]
	v_fma_f64 v[10:11], v[6:7], s[28:29], -v[8:9]
	v_add_f64 v[16:17], v[10:11], v[0:1]
	v_mul_f64 v[0:1], v[210:211], s[26:27]
	v_fma_f64 v[10:11], v[4:5], s[28:29], v[0:1]
	v_fma_f64 v[0:1], v[4:5], s[28:29], -v[0:1]
	v_add_f64 v[18:19], v[10:11], v[2:3]
	v_fma_f64 v[2:3], v[6:7], s[28:29], v[8:9]
	v_add_f64 v[22:23], v[0:1], v[194:195]
	v_mul_f64 v[0:1], v[14:15], s[20:21]
	v_add_f64 v[20:21], v[2:3], v[192:193]
	v_fma_f64 v[2:3], v[6:7], s[2:3], -v[0:1]
	v_fma_f64 v[0:1], v[6:7], s[2:3], v[0:1]
	v_add_f64 v[24:25], v[2:3], v[208:209]
	v_mul_f64 v[2:3], v[210:211], s[20:21]
	v_add_f64 v[28:29], v[0:1], v[216:217]
	v_fma_f64 v[0:1], v[4:5], s[2:3], -v[2:3]
	v_fma_f64 v[8:9], v[4:5], s[2:3], v[2:3]
	v_add_f64 v[30:31], v[0:1], v[218:219]
	v_mul_f64 v[0:1], v[14:15], s[18:19]
	v_add_f64 v[26:27], v[8:9], v[214:215]
	v_add_f64 v[214:215], v[200:201], -v[202:203]
	v_fma_f64 v[2:3], v[6:7], s[16:17], -v[0:1]
	v_fma_f64 v[0:1], v[6:7], s[16:17], v[0:1]
	v_add_f64 v[32:33], v[2:3], v[220:221]
	v_mul_f64 v[2:3], v[210:211], s[18:19]
	v_add_f64 v[10:11], v[0:1], v[224:225]
	v_fma_f64 v[8:9], v[4:5], s[16:17], v[2:3]
	v_fma_f64 v[0:1], v[4:5], s[16:17], -v[2:3]
	v_add_f64 v[34:35], v[8:9], v[222:223]
	v_add_f64 v[8:9], v[0:1], v[226:227]
	v_mul_f64 v[0:1], v[14:15], s[44:45]
	v_fma_f64 v[2:3], v[6:7], s[34:35], -v[0:1]
	v_fma_f64 v[0:1], v[6:7], s[34:35], v[0:1]
	v_add_f64 v[230:231], v[2:3], v[228:229]
	v_mul_f64 v[2:3], v[210:211], s[44:45]
	v_add_f64 v[228:229], v[0:1], v[234:235]
	v_add_f64 v[234:235], v[196:197], -v[198:199]
	v_fma_f64 v[0:1], v[4:5], s[34:35], -v[2:3]
	v_fma_f64 v[192:193], v[4:5], s[34:35], v[2:3]
	v_add_f64 v[226:227], v[0:1], v[236:237]
	v_mul_f64 v[0:1], v[14:15], s[40:41]
	v_add_f64 v[232:233], v[192:193], v[232:233]
	v_fma_f64 v[2:3], v[6:7], s[22:23], -v[0:1]
	v_fma_f64 v[0:1], v[6:7], s[22:23], v[0:1]
	v_add_f64 v[222:223], v[2:3], v[238:239]
	v_mul_f64 v[2:3], v[210:211], s[40:41]
	v_add_f64 v[220:221], v[0:1], v[243:244]
	;; [unrolled: 5-line block ×4, first 2 shown]
	v_add_f64 v[210:211], v[200:201], v[202:203]
	v_fma_f64 v[14:15], v[4:5], s[14:15], v[2:3]
	v_fma_f64 v[0:1], v[4:5], s[14:15], -v[2:3]
	v_mul_f64 v[4:5], v[234:235], s[30:31]
	v_add_f64 v[2:3], v[196:197], v[198:199]
	v_add_f64 v[212:213], v[14:15], v[249:250]
	;; [unrolled: 1-line block ×3, first 2 shown]
	v_fma_f64 v[6:7], v[210:211], s[34:35], -v[4:5]
	v_fma_f64 v[4:5], v[210:211], s[34:35], v[4:5]
	v_add_f64 v[192:193], v[6:7], v[16:17]
	v_mul_f64 v[6:7], v[214:215], s[30:31]
	v_add_f64 v[196:197], v[4:5], v[20:21]
	v_mul_f64 v[16:17], v[214:215], s[26:27]
	v_fma_f64 v[4:5], v[2:3], s[34:35], -v[6:7]
	v_fma_f64 v[14:15], v[2:3], s[34:35], v[6:7]
	v_add_f64 v[198:199], v[4:5], v[22:23]
	v_mul_f64 v[4:5], v[234:235], s[40:41]
	v_add_f64 v[194:195], v[14:15], v[18:19]
	v_fma_f64 v[6:7], v[210:211], s[22:23], -v[4:5]
	v_fma_f64 v[4:5], v[210:211], s[22:23], v[4:5]
	v_add_f64 v[200:201], v[6:7], v[24:25]
	v_mul_f64 v[6:7], v[214:215], s[40:41]
	v_add_f64 v[204:205], v[4:5], v[28:29]
	v_fma_f64 v[14:15], v[2:3], s[22:23], v[6:7]
	v_fma_f64 v[4:5], v[2:3], s[22:23], -v[6:7]
	v_fma_f64 v[6:7], v[2:3], s[28:29], v[16:17]
	v_add_f64 v[202:203], v[14:15], v[26:27]
	v_mul_f64 v[14:15], v[234:235], s[26:27]
	v_add_f64 v[206:207], v[4:5], v[30:31]
	v_add_f64 v[6:7], v[6:7], v[34:35]
	v_fma_f64 v[4:5], v[210:211], s[28:29], -v[14:15]
	v_fma_f64 v[14:15], v[210:211], s[28:29], v[14:15]
	v_add_f64 v[4:5], v[4:5], v[32:33]
	v_add_f64 v[236:237], v[14:15], v[10:11]
	v_fma_f64 v[10:11], v[2:3], s[28:29], -v[16:17]
	v_mul_f64 v[14:15], v[234:235], s[42:43]
	v_mul_f64 v[16:17], v[214:215], s[42:43]
	v_add_f64 v[238:239], v[10:11], v[8:9]
	v_fma_f64 v[8:9], v[210:211], s[16:17], -v[14:15]
	v_fma_f64 v[14:15], v[210:211], s[16:17], v[14:15]
	v_fma_f64 v[10:11], v[2:3], s[16:17], v[16:17]
	v_add_f64 v[8:9], v[8:9], v[230:231]
	v_add_f64 v[228:229], v[14:15], v[228:229]
	v_fma_f64 v[14:15], v[2:3], s[16:17], -v[16:17]
	v_add_f64 v[10:11], v[10:11], v[232:233]
	v_add_f64 v[230:231], v[14:15], v[226:227]
	v_mul_f64 v[14:15], v[234:235], s[12:13]
	v_fma_f64 v[16:17], v[210:211], s[14:15], -v[14:15]
	v_fma_f64 v[14:15], v[210:211], s[14:15], v[14:15]
	v_add_f64 v[222:223], v[16:17], v[222:223]
	v_mul_f64 v[16:17], v[214:215], s[12:13]
	v_add_f64 v[241:242], v[14:15], v[220:221]
	v_fma_f64 v[14:15], v[2:3], s[14:15], -v[16:17]
	v_fma_f64 v[18:19], v[2:3], s[14:15], v[16:17]
	v_add_f64 v[243:244], v[14:15], v[218:219]
	v_mul_f64 v[14:15], v[234:235], s[20:21]
	v_add_f64 v[224:225], v[18:19], v[224:225]
	v_fma_f64 v[16:17], v[210:211], s[2:3], -v[14:15]
	v_fma_f64 v[14:15], v[210:211], s[2:3], v[14:15]
	v_add_f64 v[216:217], v[16:17], v[216:217]
	v_mul_f64 v[16:17], v[214:215], s[20:21]
	v_add_f64 v[208:209], v[14:15], v[208:209]
	v_add_co_u32 v14, s0, 0x5f10, v12
	v_add_co_ci_u32_e64 v15, s0, 0, v13, s0
	v_fma_f64 v[18:19], v[2:3], s[2:3], v[16:17]
	v_fma_f64 v[2:3], v[2:3], s[2:3], -v[16:17]
	v_add_f64 v[218:219], v[18:19], v[212:213]
	v_add_f64 v[210:211], v[2:3], v[0:1]
	ds_write_b128 v255, v[188:191]
	ds_write_b128 v255, v[192:195] offset:1872
	ds_write_b128 v255, v[200:203] offset:3744
	;; [unrolled: 1-line block ×12, first 2 shown]
	v_add_co_u32 v4, s0, 0x5800, v12
	v_add_co_ci_u32_e64 v5, s0, 0, v13, s0
	s_waitcnt lgkmcnt(0)
	s_waitcnt_vscnt null, 0x0
	s_barrier
	buffer_gl0_inv
	global_load_dwordx4 v[4:7], v[4:5], off offset:1808
	ds_read_b128 v[0:3], v255
	s_waitcnt vmcnt(0) lgkmcnt(0)
	v_mul_f64 v[8:9], v[2:3], v[6:7]
	v_fma_f64 v[8:9], v[0:1], v[4:5], -v[8:9]
	v_mul_f64 v[0:1], v[0:1], v[6:7]
	v_fma_f64 v[10:11], v[2:3], v[4:5], v[0:1]
	global_load_dwordx4 v[4:7], v[14:15], off offset:1872
	ds_read_b128 v[0:3], v255 offset:1872
	ds_write_b128 v255, v[8:11]
	s_waitcnt vmcnt(0) lgkmcnt(1)
	v_mul_f64 v[8:9], v[2:3], v[6:7]
	v_fma_f64 v[8:9], v[0:1], v[4:5], -v[8:9]
	v_mul_f64 v[0:1], v[0:1], v[6:7]
	v_fma_f64 v[10:11], v[2:3], v[4:5], v[0:1]
	v_add_co_u32 v4, s0, 0x6800, v12
	v_add_co_ci_u32_e64 v5, s0, 0, v13, s0
	ds_read_b128 v[0:3], v255 offset:3744
	global_load_dwordx4 v[4:7], v[4:5], off offset:1456
	ds_write_b128 v255, v[8:11] offset:1872
	s_waitcnt vmcnt(0) lgkmcnt(1)
	v_mul_f64 v[8:9], v[2:3], v[6:7]
	v_fma_f64 v[8:9], v[0:1], v[4:5], -v[8:9]
	v_mul_f64 v[0:1], v[0:1], v[6:7]
	v_fma_f64 v[10:11], v[2:3], v[4:5], v[0:1]
	v_add_co_u32 v4, s0, 0x7000, v12
	v_add_co_ci_u32_e64 v5, s0, 0, v13, s0
	ds_read_b128 v[0:3], v255 offset:5616
	global_load_dwordx4 v[4:7], v[4:5], off offset:1280
	ds_write_b128 v255, v[8:11] offset:3744
	;; [unrolled: 10-line block ×7, first 2 shown]
	s_waitcnt vmcnt(0) lgkmcnt(1)
	v_mul_f64 v[8:9], v[2:3], v[6:7]
	v_fma_f64 v[8:9], v[0:1], v[4:5], -v[8:9]
	v_mul_f64 v[0:1], v[0:1], v[6:7]
	v_fma_f64 v[10:11], v[2:3], v[4:5], v[0:1]
	v_add_co_u32 v4, s0, 0xa000, v12
	v_add_co_ci_u32_e64 v5, s0, 0, v13, s0
	ds_read_b128 v[0:3], v255 offset:16848
	v_add_co_u32 v14, s0, 0xa800, v12
	global_load_dwordx4 v[4:7], v[4:5], off offset:224
	v_add_co_ci_u32_e64 v15, s0, 0, v13, s0
	ds_write_b128 v255, v[8:11] offset:14976
	s_waitcnt vmcnt(0) lgkmcnt(1)
	v_mul_f64 v[8:9], v[2:3], v[6:7]
	v_fma_f64 v[8:9], v[0:1], v[4:5], -v[8:9]
	v_mul_f64 v[0:1], v[0:1], v[6:7]
	v_fma_f64 v[10:11], v[2:3], v[4:5], v[0:1]
	global_load_dwordx4 v[4:7], v[14:15], off offset:48
	ds_read_b128 v[0:3], v255 offset:18720
	ds_write_b128 v255, v[8:11] offset:16848
	s_waitcnt vmcnt(0) lgkmcnt(1)
	v_mul_f64 v[8:9], v[2:3], v[6:7]
	v_fma_f64 v[8:9], v[0:1], v[4:5], -v[8:9]
	v_mul_f64 v[0:1], v[0:1], v[6:7]
	v_fma_f64 v[10:11], v[2:3], v[4:5], v[0:1]
	global_load_dwordx4 v[4:7], v[14:15], off offset:1920
	ds_read_b128 v[0:3], v255 offset:20592
	ds_write_b128 v255, v[8:11] offset:18720
	s_waitcnt vmcnt(0) lgkmcnt(1)
	v_mul_f64 v[8:9], v[2:3], v[6:7]
	v_fma_f64 v[8:9], v[0:1], v[4:5], -v[8:9]
	v_mul_f64 v[0:1], v[0:1], v[6:7]
	v_fma_f64 v[10:11], v[2:3], v[4:5], v[0:1]
	v_add_co_u32 v4, s0, 0xb000, v12
	v_add_co_ci_u32_e64 v5, s0, 0, v13, s0
	ds_read_b128 v[0:3], v255 offset:22464
	global_load_dwordx4 v[4:7], v[4:5], off offset:1744
	ds_write_b128 v255, v[8:11] offset:20592
	s_waitcnt vmcnt(0) lgkmcnt(1)
	v_mul_f64 v[8:9], v[2:3], v[6:7]
	v_fma_f64 v[8:9], v[0:1], v[4:5], -v[8:9]
	v_mul_f64 v[0:1], v[0:1], v[6:7]
	v_fma_f64 v[10:11], v[2:3], v[4:5], v[0:1]
	ds_write_b128 v255, v[8:11] offset:22464
	s_waitcnt lgkmcnt(0)
	s_barrier
	buffer_gl0_inv
	ds_read_b128 v[0:3], v255
	ds_read_b128 v[4:7], v255 offset:1872
	ds_read_b128 v[8:11], v255 offset:3744
	;; [unrolled: 1-line block ×12, first 2 shown]
	s_waitcnt lgkmcnt(0)
	s_barrier
	buffer_gl0_inv
	v_add_f64 v[14:15], v[2:3], v[6:7]
	v_add_f64 v[12:13], v[0:1], v[4:5]
	;; [unrolled: 1-line block ×25, first 2 shown]
	v_add_f64 v[6:7], v[6:7], -v[230:231]
	v_add_f64 v[188:189], v[12:13], v[228:229]
	v_add_f64 v[12:13], v[4:5], v[228:229]
	v_add_f64 v[4:5], v[4:5], -v[228:229]
	v_mul_f64 v[20:21], v[14:15], s[22:23]
	v_mul_f64 v[16:17], v[6:7], s[24:25]
	;; [unrolled: 1-line block ×12, first 2 shown]
	v_fma_f64 v[22:23], v[4:5], s[40:41], v[20:21]
	v_fma_f64 v[18:19], v[12:13], s[22:23], v[16:17]
	v_fma_f64 v[16:17], v[12:13], s[22:23], -v[16:17]
	v_fma_f64 v[26:27], v[12:13], s[16:17], v[24:25]
	v_fma_f64 v[24:25], v[12:13], s[16:17], -v[24:25]
	;; [unrolled: 2-line block ×6, first 2 shown]
	v_fma_f64 v[20:21], v[4:5], s[24:25], v[20:21]
	v_fma_f64 v[30:31], v[4:5], s[42:43], v[28:29]
	;; [unrolled: 1-line block ×10, first 2 shown]
	v_add_f64 v[18:19], v[0:1], v[18:19]
	v_add_f64 v[16:17], v[0:1], v[16:17]
	;; [unrolled: 1-line block ×12, first 2 shown]
	v_fma_f64 v[4:5], v[4:5], s[30:31], v[14:15]
	v_add_f64 v[6:7], v[10:11], v[226:227]
	v_add_f64 v[10:11], v[10:11], -v[226:227]
	v_add_f64 v[22:23], v[2:3], v[22:23]
	v_add_f64 v[20:21], v[2:3], v[20:21]
	;; [unrolled: 1-line block ×13, first 2 shown]
	v_mul_f64 v[12:13], v[10:11], s[18:19]
	v_add_f64 v[8:9], v[8:9], -v[224:225]
	v_fma_f64 v[14:15], v[4:5], s[16:17], v[12:13]
	v_fma_f64 v[12:13], v[4:5], s[16:17], -v[12:13]
	v_add_f64 v[14:15], v[14:15], v[18:19]
	v_mul_f64 v[18:19], v[6:7], s[16:17]
	v_add_f64 v[12:13], v[12:13], v[16:17]
	v_fma_f64 v[224:225], v[8:9], s[42:43], v[18:19]
	v_fma_f64 v[16:17], v[8:9], s[18:19], v[18:19]
	v_mul_f64 v[18:19], v[10:11], s[12:13]
	v_add_f64 v[22:23], v[224:225], v[22:23]
	v_add_f64 v[16:17], v[16:17], v[20:21]
	v_fma_f64 v[20:21], v[4:5], s[14:15], v[18:19]
	v_fma_f64 v[18:19], v[4:5], s[14:15], -v[18:19]
	v_add_f64 v[20:21], v[20:21], v[26:27]
	v_mul_f64 v[26:27], v[6:7], s[14:15]
	v_add_f64 v[18:19], v[18:19], v[24:25]
	v_fma_f64 v[224:225], v[8:9], s[38:39], v[26:27]
	v_fma_f64 v[24:25], v[8:9], s[12:13], v[26:27]
	v_mul_f64 v[26:27], v[10:11], s[30:31]
	v_add_f64 v[30:31], v[224:225], v[30:31]
	v_add_f64 v[24:25], v[24:25], v[28:29]
	;; [unrolled: 10-line block ×3, first 2 shown]
	v_fma_f64 v[226:227], v[4:5], s[28:29], v[34:35]
	v_fma_f64 v[34:35], v[4:5], s[28:29], -v[34:35]
	v_mul_f64 v[228:229], v[6:7], s[28:29]
	v_add_f64 v[226:227], v[226:227], v[234:235]
	v_add_f64 v[34:35], v[34:35], v[232:233]
	v_mul_f64 v[232:233], v[10:11], s[20:21]
	v_fma_f64 v[230:231], v[8:9], s[26:27], v[228:229]
	v_fma_f64 v[228:229], v[8:9], s[36:37], v[228:229]
	v_mul_f64 v[10:11], v[10:11], s[40:41]
	v_fma_f64 v[234:235], v[4:5], s[2:3], v[232:233]
	v_fma_f64 v[232:233], v[4:5], s[2:3], -v[232:233]
	v_add_f64 v[228:229], v[228:229], v[236:237]
	v_mul_f64 v[236:237], v[6:7], s[2:3]
	v_mul_f64 v[6:7], v[6:7], s[22:23]
	v_add_f64 v[230:231], v[230:231], v[238:239]
	v_add_f64 v[234:235], v[234:235], v[243:244]
	;; [unrolled: 1-line block ×3, first 2 shown]
	v_fma_f64 v[241:242], v[4:5], s[22:23], v[10:11]
	v_fma_f64 v[4:5], v[4:5], s[22:23], -v[10:11]
	v_add_f64 v[10:11], v[202:203], -v[222:223]
	v_fma_f64 v[238:239], v[8:9], s[6:7], v[236:237]
	v_fma_f64 v[236:237], v[8:9], s[20:21], v[236:237]
	;; [unrolled: 1-line block ×3, first 2 shown]
	v_add_f64 v[241:242], v[241:242], v[249:250]
	v_add_f64 v[0:1], v[4:5], v[0:1]
	v_fma_f64 v[4:5], v[8:9], s[40:41], v[6:7]
	v_add_f64 v[8:9], v[200:201], -v[220:221]
	v_add_f64 v[6:7], v[202:203], v[222:223]
	v_add_f64 v[236:237], v[236:237], v[245:246]
	;; [unrolled: 1-line block ×6, first 2 shown]
	v_mul_f64 v[200:201], v[10:11], s[6:7]
	v_mul_f64 v[222:223], v[6:7], s[22:23]
	v_fma_f64 v[202:203], v[4:5], s[2:3], v[200:201]
	v_fma_f64 v[200:201], v[4:5], s[2:3], -v[200:201]
	v_add_f64 v[14:15], v[202:203], v[14:15]
	v_mul_f64 v[202:203], v[6:7], s[2:3]
	v_add_f64 v[12:13], v[200:201], v[12:13]
	v_fma_f64 v[200:201], v[8:9], s[6:7], v[202:203]
	v_fma_f64 v[220:221], v[8:9], s[20:21], v[202:203]
	v_add_f64 v[16:17], v[200:201], v[16:17]
	v_mul_f64 v[200:201], v[10:11], s[30:31]
	v_add_f64 v[22:23], v[220:221], v[22:23]
	v_fma_f64 v[202:203], v[4:5], s[34:35], v[200:201]
	v_fma_f64 v[200:201], v[4:5], s[34:35], -v[200:201]
	v_add_f64 v[20:21], v[202:203], v[20:21]
	v_mul_f64 v[202:203], v[6:7], s[34:35]
	v_add_f64 v[18:19], v[200:201], v[18:19]
	v_fma_f64 v[200:201], v[8:9], s[30:31], v[202:203]
	v_fma_f64 v[220:221], v[8:9], s[44:45], v[202:203]
	v_add_f64 v[24:25], v[200:201], v[24:25]
	v_mul_f64 v[200:201], v[10:11], s[38:39]
	v_add_f64 v[30:31], v[220:221], v[30:31]
	;; [unrolled: 10-line block ×3, first 2 shown]
	v_fma_f64 v[224:225], v[8:9], s[24:25], v[222:223]
	v_fma_f64 v[202:203], v[4:5], s[22:23], v[200:201]
	v_fma_f64 v[200:201], v[4:5], s[22:23], -v[200:201]
	v_add_f64 v[224:225], v[224:225], v[230:231]
	v_add_f64 v[202:203], v[202:203], v[226:227]
	;; [unrolled: 1-line block ×3, first 2 shown]
	v_fma_f64 v[200:201], v[8:9], s[40:41], v[222:223]
	v_mul_f64 v[222:223], v[10:11], s[18:19]
	v_mul_f64 v[10:11], v[10:11], s[26:27]
	v_add_f64 v[200:201], v[200:201], v[228:229]
	v_fma_f64 v[226:227], v[4:5], s[16:17], v[222:223]
	v_fma_f64 v[222:223], v[4:5], s[16:17], -v[222:223]
	v_mul_f64 v[228:229], v[6:7], s[16:17]
	v_mul_f64 v[6:7], v[6:7], s[28:29]
	v_add_f64 v[226:227], v[226:227], v[234:235]
	v_add_f64 v[222:223], v[222:223], v[232:233]
	v_fma_f64 v[232:233], v[4:5], s[28:29], v[10:11]
	v_fma_f64 v[4:5], v[4:5], s[28:29], -v[10:11]
	v_add_f64 v[10:11], v[206:207], -v[218:219]
	v_fma_f64 v[230:231], v[8:9], s[42:43], v[228:229]
	v_fma_f64 v[228:229], v[8:9], s[18:19], v[228:229]
	;; [unrolled: 1-line block ×3, first 2 shown]
	v_add_f64 v[232:233], v[232:233], v[241:242]
	v_add_f64 v[0:1], v[4:5], v[0:1]
	v_fma_f64 v[4:5], v[8:9], s[26:27], v[6:7]
	v_add_f64 v[8:9], v[204:205], -v[216:217]
	v_add_f64 v[6:7], v[206:207], v[218:219]
	v_add_f64 v[228:229], v[228:229], v[236:237]
	;; [unrolled: 1-line block ×6, first 2 shown]
	v_mul_f64 v[204:205], v[10:11], s[12:13]
	v_fma_f64 v[206:207], v[4:5], s[14:15], v[204:205]
	v_fma_f64 v[204:205], v[4:5], s[14:15], -v[204:205]
	v_add_f64 v[14:15], v[206:207], v[14:15]
	v_mul_f64 v[206:207], v[6:7], s[14:15]
	v_add_f64 v[12:13], v[204:205], v[12:13]
	v_fma_f64 v[204:205], v[8:9], s[12:13], v[206:207]
	v_fma_f64 v[216:217], v[8:9], s[38:39], v[206:207]
	v_add_f64 v[16:17], v[204:205], v[16:17]
	v_mul_f64 v[204:205], v[10:11], s[36:37]
	v_add_f64 v[22:23], v[216:217], v[22:23]
	v_fma_f64 v[206:207], v[4:5], s[28:29], v[204:205]
	v_fma_f64 v[204:205], v[4:5], s[28:29], -v[204:205]
	v_add_f64 v[20:21], v[206:207], v[20:21]
	v_mul_f64 v[206:207], v[6:7], s[28:29]
	v_add_f64 v[18:19], v[204:205], v[18:19]
	v_fma_f64 v[204:205], v[8:9], s[36:37], v[206:207]
	v_fma_f64 v[216:217], v[8:9], s[26:27], v[206:207]
	v_add_f64 v[24:25], v[204:205], v[24:25]
	v_mul_f64 v[204:205], v[10:11], s[40:41]
	v_add_f64 v[30:31], v[216:217], v[30:31]
	;; [unrolled: 10-line block ×3, first 2 shown]
	v_fma_f64 v[206:207], v[4:5], s[2:3], v[204:205]
	v_fma_f64 v[204:205], v[4:5], s[2:3], -v[204:205]
	v_add_f64 v[218:219], v[206:207], v[202:203]
	v_mul_f64 v[202:203], v[6:7], s[2:3]
	v_add_f64 v[34:35], v[204:205], v[34:35]
	v_fma_f64 v[206:207], v[8:9], s[20:21], v[202:203]
	v_fma_f64 v[202:203], v[8:9], s[6:7], v[202:203]
	v_add_f64 v[220:221], v[206:207], v[224:225]
	v_add_f64 v[224:225], v[202:203], v[200:201]
	v_mul_f64 v[200:201], v[10:11], s[44:45]
	v_mul_f64 v[10:11], v[10:11], s[42:43]
	v_fma_f64 v[202:203], v[4:5], s[34:35], v[200:201]
	v_fma_f64 v[200:201], v[4:5], s[34:35], -v[200:201]
	v_add_f64 v[226:227], v[202:203], v[226:227]
	v_mul_f64 v[202:203], v[6:7], s[34:35]
	v_add_f64 v[222:223], v[200:201], v[222:223]
	v_mul_f64 v[6:7], v[6:7], s[16:17]
	v_fma_f64 v[200:201], v[8:9], s[44:45], v[202:203]
	v_fma_f64 v[204:205], v[8:9], s[30:31], v[202:203]
	v_add_f64 v[228:229], v[200:201], v[228:229]
	v_fma_f64 v[200:201], v[4:5], s[16:17], v[10:11]
	v_fma_f64 v[4:5], v[4:5], s[16:17], -v[10:11]
	v_add_f64 v[10:11], v[210:211], -v[214:215]
	v_add_f64 v[230:231], v[204:205], v[230:231]
	v_add_f64 v[249:250], v[200:201], v[232:233]
	v_fma_f64 v[200:201], v[8:9], s[18:19], v[6:7]
	v_add_f64 v[0:1], v[4:5], v[0:1]
	v_fma_f64 v[4:5], v[8:9], s[42:43], v[6:7]
	v_add_f64 v[6:7], v[210:211], v[214:215]
	v_add_f64 v[8:9], v[208:209], -v[212:213]
	v_add_f64 v[251:252], v[200:201], v[234:235]
	v_mul_f64 v[200:201], v[10:11], s[26:27]
	v_add_f64 v[2:3], v[4:5], v[2:3]
	v_add_f64 v[4:5], v[208:209], v[212:213]
	v_fma_f64 v[202:203], v[4:5], s[28:29], v[200:201]
	v_add_f64 v[241:242], v[202:203], v[14:15]
	v_mul_f64 v[14:15], v[6:7], s[28:29]
	v_fma_f64 v[202:203], v[8:9], s[36:37], v[14:15]
	v_add_f64 v[243:244], v[202:203], v[22:23]
	v_fma_f64 v[22:23], v[4:5], s[28:29], -v[200:201]
	v_add_f64 v[245:246], v[22:23], v[12:13]
	v_fma_f64 v[12:13], v[8:9], s[26:27], v[14:15]
	v_add_f64 v[247:248], v[12:13], v[16:17]
	v_mul_f64 v[12:13], v[10:11], s[20:21]
	v_fma_f64 v[14:15], v[4:5], s[2:3], v[12:13]
	v_fma_f64 v[12:13], v[4:5], s[2:3], -v[12:13]
	v_add_f64 v[204:205], v[14:15], v[20:21]
	v_mul_f64 v[14:15], v[6:7], s[2:3]
	v_add_f64 v[200:201], v[12:13], v[18:19]
	v_fma_f64 v[12:13], v[8:9], s[20:21], v[14:15]
	v_fma_f64 v[16:17], v[8:9], s[6:7], v[14:15]
	v_add_f64 v[202:203], v[12:13], v[24:25]
	v_mul_f64 v[12:13], v[10:11], s[18:19]
	v_add_f64 v[206:207], v[16:17], v[30:31]
	v_fma_f64 v[14:15], v[4:5], s[16:17], v[12:13]
	v_fma_f64 v[12:13], v[4:5], s[16:17], -v[12:13]
	v_add_f64 v[208:209], v[14:15], v[28:29]
	v_mul_f64 v[14:15], v[6:7], s[16:17]
	v_add_f64 v[212:213], v[12:13], v[26:27]
	v_fma_f64 v[12:13], v[8:9], s[18:19], v[14:15]
	v_fma_f64 v[16:17], v[8:9], s[42:43], v[14:15]
	v_add_f64 v[214:215], v[12:13], v[32:33]
	v_mul_f64 v[12:13], v[10:11], s[44:45]
	v_add_f64 v[210:211], v[16:17], v[216:217]
	;; [unrolled: 10-line block ×3, first 2 shown]
	v_mul_f64 v[10:11], v[10:11], s[12:13]
	v_fma_f64 v[14:15], v[4:5], s[22:23], v[12:13]
	v_fma_f64 v[12:13], v[4:5], s[22:23], -v[12:13]
	v_add_f64 v[232:233], v[14:15], v[226:227]
	v_mul_f64 v[14:15], v[6:7], s[22:23]
	v_mul_f64 v[6:7], v[6:7], s[14:15]
	v_fma_f64 v[16:17], v[8:9], s[24:25], v[14:15]
	v_add_f64 v[234:235], v[16:17], v[230:231]
	v_add_f64 v[230:231], v[12:13], v[222:223]
	v_fma_f64 v[12:13], v[8:9], s[40:41], v[14:15]
	v_add_f64 v[228:229], v[12:13], v[228:229]
	v_fma_f64 v[12:13], v[4:5], s[14:15], v[10:11]
	v_fma_f64 v[4:5], v[4:5], s[14:15], -v[10:11]
	v_add_f64 v[226:227], v[12:13], v[249:250]
	v_add_f64 v[222:223], v[4:5], v[0:1]
	v_fma_f64 v[0:1], v[8:9], s[12:13], v[6:7]
	v_fma_f64 v[12:13], v[8:9], s[38:39], v[6:7]
	v_add_f64 v[249:250], v[192:193], -v[196:197]
	v_add_f64 v[220:221], v[0:1], v[2:3]
	v_add_f64 v[0:1], v[194:195], -v[198:199]
	v_add_f64 v[224:225], v[12:13], v[251:252]
	v_add_f64 v[251:252], v[192:193], v[196:197]
	v_mul_f64 v[12:13], v[253:254], s[14:15]
	v_mul_f64 v[2:3], v[0:1], s[30:31]
	;; [unrolled: 1-line block ×3, first 2 shown]
	v_fma_f64 v[8:9], v[249:250], s[38:39], v[12:13]
	v_fma_f64 v[12:13], v[249:250], s[12:13], v[12:13]
	;; [unrolled: 1-line block ×3, first 2 shown]
	v_fma_f64 v[2:3], v[251:252], s[34:35], -v[2:3]
	v_add_f64 v[8:9], v[8:9], v[234:235]
	v_add_f64 v[12:13], v[12:13], v[228:229]
	v_add_f64 v[196:197], v[4:5], v[241:242]
	v_mul_f64 v[4:5], v[253:254], s[34:35]
	v_add_f64 v[192:193], v[2:3], v[245:246]
	v_fma_f64 v[2:3], v[249:250], s[30:31], v[4:5]
	v_fma_f64 v[6:7], v[249:250], s[44:45], v[4:5]
	v_add_f64 v[194:195], v[2:3], v[247:248]
	v_mul_f64 v[2:3], v[0:1], s[40:41]
	v_add_f64 v[198:199], v[6:7], v[243:244]
	v_fma_f64 v[4:5], v[251:252], s[22:23], v[2:3]
	v_fma_f64 v[2:3], v[251:252], s[22:23], -v[2:3]
	v_add_f64 v[204:205], v[4:5], v[204:205]
	v_mul_f64 v[4:5], v[253:254], s[22:23]
	v_add_f64 v[200:201], v[2:3], v[200:201]
	v_fma_f64 v[2:3], v[249:250], s[40:41], v[4:5]
	v_fma_f64 v[6:7], v[249:250], s[24:25], v[4:5]
	v_add_f64 v[202:203], v[2:3], v[202:203]
	v_mul_f64 v[2:3], v[0:1], s[26:27]
	v_add_f64 v[206:207], v[6:7], v[206:207]
	v_fma_f64 v[4:5], v[251:252], s[28:29], v[2:3]
	v_fma_f64 v[2:3], v[251:252], s[28:29], -v[2:3]
	v_add_f64 v[208:209], v[4:5], v[208:209]
	v_mul_f64 v[4:5], v[253:254], s[28:29]
	v_add_f64 v[212:213], v[2:3], v[212:213]
	v_fma_f64 v[2:3], v[249:250], s[26:27], v[4:5]
	v_fma_f64 v[6:7], v[249:250], s[36:37], v[4:5]
	v_add_f64 v[214:215], v[2:3], v[214:215]
	v_mul_f64 v[2:3], v[0:1], s[42:43]
	v_mul_f64 v[0:1], v[0:1], s[20:21]
	v_add_f64 v[210:211], v[6:7], v[210:211]
	v_fma_f64 v[4:5], v[251:252], s[16:17], v[2:3]
	v_fma_f64 v[14:15], v[251:252], s[2:3], v[0:1]
	v_fma_f64 v[0:1], v[251:252], s[2:3], -v[0:1]
	v_fma_f64 v[2:3], v[251:252], s[16:17], -v[2:3]
	v_add_f64 v[216:217], v[4:5], v[216:217]
	v_mul_f64 v[4:5], v[253:254], s[16:17]
	v_add_f64 v[226:227], v[14:15], v[226:227]
	v_mul_f64 v[14:15], v[253:254], s[2:3]
	v_add_f64 v[222:223], v[0:1], v[222:223]
	v_add_f64 v[2:3], v[2:3], v[238:239]
	v_fma_f64 v[6:7], v[249:250], s[18:19], v[4:5]
	v_fma_f64 v[4:5], v[249:250], s[42:43], v[4:5]
	;; [unrolled: 1-line block ×4, first 2 shown]
	v_add_f64 v[218:219], v[6:7], v[218:219]
	v_fma_f64 v[6:7], v[251:252], s[14:15], v[10:11]
	v_fma_f64 v[10:11], v[251:252], s[14:15], -v[10:11]
	v_add_f64 v[228:229], v[16:17], v[224:225]
	v_add_f64 v[224:225], v[0:1], v[220:221]
	;; [unrolled: 1-line block ×5, first 2 shown]
	ds_write_b128 v240, v[188:191]
	ds_write_b128 v240, v[196:199] offset:16
	ds_write_b128 v240, v[204:207] offset:32
	ds_write_b128 v240, v[208:211] offset:48
	ds_write_b128 v240, v[216:219] offset:64
	ds_write_b128 v240, v[6:9] offset:80
	ds_write_b128 v240, v[226:229] offset:96
	ds_write_b128 v240, v[222:225] offset:112
	ds_write_b128 v240, v[10:13] offset:128
	ds_write_b128 v240, v[2:5] offset:144
	ds_write_b128 v240, v[212:215] offset:160
	ds_write_b128 v240, v[200:203] offset:176
	ds_write_b128 v240, v[192:195] offset:192
	s_waitcnt lgkmcnt(0)
	s_barrier
	buffer_gl0_inv
	ds_read_b128 v[200:203], v255
	ds_read_b128 v[236:239], v255 offset:8112
	ds_read_b128 v[228:231], v255 offset:16224
	;; [unrolled: 1-line block ×11, first 2 shown]
	s_and_saveexec_b32 s0, vcc_lo
	s_cbranch_execz .LBB0_11
; %bb.10:
	ds_read_b128 v[192:195], v255 offset:7488
	ds_read_b128 v[180:183], v255 offset:15600
	;; [unrolled: 1-line block ×3, first 2 shown]
.LBB0_11:
	s_or_b32 exec_lo, exec_lo, s0
	s_waitcnt lgkmcnt(10)
	v_mul_f64 v[0:1], v[82:83], v[238:239]
	v_mul_f64 v[2:3], v[82:83], v[236:237]
	s_waitcnt lgkmcnt(9)
	v_mul_f64 v[6:7], v[78:79], v[228:229]
	s_waitcnt lgkmcnt(7)
	v_mul_f64 v[8:9], v[90:91], v[234:235]
	v_mul_f64 v[10:11], v[90:91], v[232:233]
	s_waitcnt lgkmcnt(6)
	v_mul_f64 v[14:15], v[86:87], v[224:225]
	s_waitcnt lgkmcnt(4)
	;; [unrolled: 2-line block ×3, first 2 shown]
	v_mul_f64 v[22:23], v[70:71], v[208:209]
	v_mul_f64 v[4:5], v[78:79], v[230:231]
	;; [unrolled: 1-line block ×4, first 2 shown]
	s_waitcnt lgkmcnt(1)
	v_mul_f64 v[24:25], v[66:67], v[222:223]
	v_mul_f64 v[26:27], v[66:67], v[220:221]
	s_waitcnt lgkmcnt(0)
	v_mul_f64 v[28:29], v[62:63], v[218:219]
	v_mul_f64 v[30:31], v[62:63], v[216:217]
	;; [unrolled: 1-line block ×5, first 2 shown]
	s_mov_b32 s0, 0xe8584caa
	s_mov_b32 s1, 0xbfebb67a
	;; [unrolled: 1-line block ×4, first 2 shown]
	v_fma_f64 v[0:1], v[80:81], v[236:237], v[0:1]
	v_fma_f64 v[2:3], v[80:81], v[238:239], -v[2:3]
	v_fma_f64 v[6:7], v[76:77], v[230:231], -v[6:7]
	v_fma_f64 v[8:9], v[88:89], v[232:233], v[8:9]
	v_fma_f64 v[10:11], v[88:89], v[234:235], -v[10:11]
	v_fma_f64 v[14:15], v[84:85], v[226:227], -v[14:15]
	;; [unrolled: 1-line block ×4, first 2 shown]
	v_fma_f64 v[4:5], v[76:77], v[228:229], v[4:5]
	v_fma_f64 v[12:13], v[84:85], v[224:225], v[12:13]
	v_fma_f64 v[20:21], v[68:69], v[208:209], v[20:21]
	v_fma_f64 v[24:25], v[64:65], v[220:221], v[24:25]
	v_fma_f64 v[26:27], v[64:65], v[222:223], -v[26:27]
	v_fma_f64 v[28:29], v[60:61], v[216:217], v[28:29]
	v_fma_f64 v[30:31], v[60:61], v[218:219], -v[30:31]
	v_fma_f64 v[32:33], v[56:57], v[180:181], v[32:33]
	v_fma_f64 v[34:35], v[56:57], v[182:183], -v[34:35]
	v_mul_f64 v[56:57], v[54:55], v[186:187]
	v_mul_f64 v[54:55], v[54:55], v[184:185]
	s_barrier
	buffer_gl0_inv
	v_add_f64 v[64:65], v[200:201], v[0:1]
	v_add_f64 v[66:67], v[202:203], v[2:3]
	;; [unrolled: 1-line block ×6, first 2 shown]
	v_add_f64 v[76:77], v[2:3], -v[6:7]
	v_add_f64 v[74:75], v[18:19], v[22:23]
	v_add_f64 v[58:59], v[0:1], v[4:5]
	v_add_f64 v[78:79], v[0:1], -v[4:5]
	v_add_f64 v[80:81], v[10:11], -v[14:15]
	v_fma_f64 v[16:17], v[72:73], v[212:213], v[16:17]
	v_add_f64 v[88:89], v[188:189], v[24:25]
	v_add_f64 v[90:91], v[190:191], v[26:27]
	v_fma_f64 v[56:57], v[52:53], v[184:185], v[56:57]
	v_fma_f64 v[54:55], v[52:53], v[186:187], -v[54:55]
	v_add_f64 v[52:53], v[8:9], v[12:13]
	v_add_f64 v[0:1], v[64:65], v[4:5]
	;; [unrolled: 1-line block ×3, first 2 shown]
	v_fma_f64 v[60:61], v[60:61], -0.5, v[202:203]
	v_add_f64 v[66:67], v[26:27], v[30:31]
	v_add_f64 v[4:5], v[68:69], v[12:13]
	v_fma_f64 v[62:63], v[62:63], -0.5, v[206:207]
	v_add_f64 v[12:13], v[8:9], -v[12:13]
	v_fma_f64 v[86:87], v[74:75], -0.5, v[198:199]
	v_add_f64 v[74:75], v[198:199], v[18:19]
	v_add_f64 v[6:7], v[70:71], v[14:15]
	v_add_f64 v[18:19], v[18:19], -v[22:23]
	v_add_f64 v[72:73], v[16:17], v[20:21]
	v_fma_f64 v[58:59], v[58:59], -0.5, v[200:201]
	v_add_f64 v[64:65], v[24:25], v[28:29]
	v_add_f64 v[26:27], v[26:27], -v[30:31]
	v_add_f64 v[24:25], v[24:25], -v[28:29]
	v_add_f64 v[88:89], v[88:89], v[28:29]
	v_add_f64 v[14:15], v[32:33], v[56:57]
	;; [unrolled: 1-line block ×3, first 2 shown]
	v_fma_f64 v[52:53], v[52:53], -0.5, v[204:205]
	v_add_f64 v[90:91], v[90:91], v[30:31]
	v_fma_f64 v[70:71], v[78:79], s[0:1], v[60:61]
	v_add_f64 v[10:11], v[74:75], v[22:23]
	v_fma_f64 v[22:23], v[66:67], -0.5, v[190:191]
	v_fma_f64 v[66:67], v[78:79], s[2:3], v[60:61]
	v_fma_f64 v[74:75], v[12:13], s[2:3], v[62:63]
	;; [unrolled: 1-line block ×3, first 2 shown]
	buffer_load_dword v12, off, s[48:51], 0 offset:180 ; 4-byte Folded Reload
	v_fma_f64 v[82:83], v[72:73], -0.5, v[196:197]
	v_add_f64 v[72:73], v[196:197], v[16:17]
	v_add_f64 v[16:17], v[16:17], -v[20:21]
	v_fma_f64 v[14:15], v[14:15], -0.5, v[192:193]
	v_add_f64 v[190:191], v[192:193], v[32:33]
	v_add_f64 v[192:193], v[194:195], v[34:35]
	v_add_f64 v[34:35], v[34:35], -v[54:55]
	v_add_f64 v[32:33], v[32:33], -v[56:57]
	v_fma_f64 v[182:183], v[24:25], s[2:3], v[22:23]
	v_fma_f64 v[186:187], v[24:25], s[0:1], v[22:23]
	;; [unrolled: 1-line block ×3, first 2 shown]
	v_add_f64 v[8:9], v[72:73], v[20:21]
	v_fma_f64 v[20:21], v[64:65], -0.5, v[188:189]
	v_fma_f64 v[64:65], v[76:77], s[0:1], v[58:59]
	v_fma_f64 v[188:189], v[68:69], -0.5, v[194:195]
	v_fma_f64 v[68:69], v[76:77], s[2:3], v[58:59]
	v_fma_f64 v[72:73], v[80:81], s[0:1], v[52:53]
	;; [unrolled: 1-line block ×6, first 2 shown]
	v_add_f64 v[52:53], v[190:191], v[56:57]
	v_add_f64 v[54:55], v[192:193], v[54:55]
	v_fma_f64 v[56:57], v[34:35], s[0:1], v[14:15]
	v_fma_f64 v[60:61], v[34:35], s[2:3], v[14:15]
	s_waitcnt vmcnt(0)
	ds_write_b128 v12, v[0:3]
	ds_write_b128 v12, v[64:67] offset:208
	ds_write_b128 v12, v[68:71] offset:416
	buffer_load_dword v0, off, s[48:51], 0 offset:176 ; 4-byte Folded Reload
	v_fma_f64 v[58:59], v[32:33], s[2:3], v[188:189]
	v_fma_f64 v[62:63], v[32:33], s[0:1], v[188:189]
	;; [unrolled: 1-line block ×4, first 2 shown]
	s_waitcnt vmcnt(0)
	ds_write_b128 v0, v[4:7]
	ds_write_b128 v0, v[72:75] offset:208
	ds_write_b128 v0, v[76:79] offset:416
	buffer_load_dword v0, off, s[48:51], 0 offset:172 ; 4-byte Folded Reload
	s_waitcnt vmcnt(0)
	ds_write_b128 v0, v[8:11]
	ds_write_b128 v0, v[80:83] offset:208
	ds_write_b128 v0, v[84:87] offset:416
	buffer_load_dword v0, off, s[48:51], 0 offset:168 ; 4-byte Folded Reload
	s_waitcnt vmcnt(0)
	ds_write_b128 v0, v[88:91]
	ds_write_b128 v0, v[180:183] offset:208
	ds_write_b128 v0, v[184:187] offset:416
	s_and_saveexec_b32 s0, vcc_lo
	s_cbranch_execz .LBB0_13
; %bb.12:
	s_clause 0x1
	buffer_load_dword v0, off, s[48:51], 0 offset:156
	buffer_load_dword v1, off, s[48:51], 0 offset:160
	s_waitcnt vmcnt(0)
	v_mad_u16 v0, v0, 39, v1
	v_mov_b32_e32 v1, 4
	v_lshlrev_b32_sdwa v0, v1, v0 dst_sel:DWORD dst_unused:UNUSED_PAD src0_sel:DWORD src1_sel:WORD_0
	ds_write_b128 v0, v[52:55]
	ds_write_b128 v0, v[56:59] offset:208
	ds_write_b128 v0, v[60:63] offset:416
.LBB0_13:
	s_or_b32 exec_lo, exec_lo, s0
	s_waitcnt lgkmcnt(0)
	s_barrier
	buffer_gl0_inv
	ds_read_b128 v[72:75], v255
	ds_read_b128 v[68:71], v255 offset:1872
	ds_read_b128 v[188:191], v255 offset:8112
	ds_read_b128 v[80:83], v255 offset:9984
	ds_read_b128 v[192:195], v255 offset:16224
	ds_read_b128 v[88:91], v255 offset:18096
	ds_read_b128 v[76:79], v255 offset:3744
	ds_read_b128 v[64:67], v255 offset:5616
	ds_read_b128 v[184:187], v255 offset:11856
	ds_read_b128 v[84:87], v255 offset:13728
	ds_read_b128 v[196:199], v255 offset:19968
	ds_read_b128 v[180:183], v255 offset:21840
	s_and_saveexec_b32 s0, vcc_lo
	s_cbranch_execz .LBB0_15
; %bb.14:
	ds_read_b128 v[52:55], v255 offset:7488
	ds_read_b128 v[56:59], v255 offset:15600
	;; [unrolled: 1-line block ×3, first 2 shown]
.LBB0_15:
	s_or_b32 exec_lo, exec_lo, s0
	s_waitcnt lgkmcnt(8)
	v_mul_f64 v[8:9], v[94:95], v[82:83]
	s_waitcnt lgkmcnt(6)
	v_mul_f64 v[10:11], v[98:99], v[90:91]
	v_mul_f64 v[12:13], v[94:95], v[80:81]
	;; [unrolled: 1-line block ×3, first 2 shown]
	s_waitcnt lgkmcnt(3)
	v_mul_f64 v[16:17], v[110:111], v[186:187]
	s_waitcnt lgkmcnt(1)
	v_mul_f64 v[18:19], v[114:115], v[198:199]
	v_mul_f64 v[20:21], v[110:111], v[184:185]
	;; [unrolled: 1-line block ×3, first 2 shown]
	s_waitcnt lgkmcnt(0)
	v_mul_f64 v[26:27], v[122:123], v[182:183]
	v_mul_f64 v[28:29], v[118:119], v[84:85]
	;; [unrolled: 1-line block ×3, first 2 shown]
	s_mov_b32 s0, 0xe8584caa
	s_mov_b32 s1, 0xbfebb67a
	;; [unrolled: 1-line block ×3, first 2 shown]
	s_barrier
	buffer_gl0_inv
	v_mul_f64 v[0:1], v[134:135], v[190:191]
	v_mul_f64 v[2:3], v[134:135], v[188:189]
	v_mul_f64 v[4:5], v[138:139], v[194:195]
	v_mul_f64 v[6:7], v[138:139], v[192:193]
	v_mul_f64 v[22:23], v[114:115], v[196:197]
	v_fma_f64 v[8:9], v[92:93], v[80:81], v[8:9]
	v_fma_f64 v[10:11], v[96:97], v[88:89], v[10:11]
	v_fma_f64 v[12:13], v[92:93], v[82:83], -v[12:13]
	v_fma_f64 v[14:15], v[96:97], v[90:91], -v[14:15]
	v_fma_f64 v[16:17], v[108:109], v[184:185], v[16:17]
	v_fma_f64 v[18:19], v[112:113], v[196:197], v[18:19]
	v_fma_f64 v[20:21], v[108:109], v[186:187], -v[20:21]
	v_fma_f64 v[24:25], v[116:117], v[84:85], v[24:25]
	v_fma_f64 v[26:27], v[120:121], v[180:181], v[26:27]
	v_fma_f64 v[28:29], v[116:117], v[86:87], -v[28:29]
	v_fma_f64 v[30:31], v[120:121], v[182:183], -v[30:31]
	v_fma_f64 v[0:1], v[132:133], v[188:189], v[0:1]
	v_fma_f64 v[2:3], v[132:133], v[190:191], -v[2:3]
	v_fma_f64 v[4:5], v[136:137], v[192:193], v[4:5]
	v_fma_f64 v[6:7], v[136:137], v[194:195], -v[6:7]
	v_fma_f64 v[22:23], v[112:113], v[198:199], -v[22:23]
	v_add_f64 v[98:99], v[68:69], v[8:9]
	v_add_f64 v[80:81], v[8:9], v[10:11]
	;; [unrolled: 1-line block ×4, first 2 shown]
	v_add_f64 v[12:13], v[12:13], -v[14:15]
	v_add_f64 v[84:85], v[16:17], v[18:19]
	v_add_f64 v[110:111], v[76:77], v[16:17]
	v_add_f64 v[118:119], v[8:9], -v[10:11]
	v_add_f64 v[112:113], v[78:79], v[20:21]
	v_add_f64 v[16:17], v[16:17], -v[18:19]
	v_add_f64 v[92:93], v[24:25], v[26:27]
	v_add_f64 v[94:95], v[28:29], v[30:31]
	;; [unrolled: 1-line block ×4, first 2 shown]
	v_add_f64 v[28:29], v[28:29], -v[30:31]
	v_add_f64 v[24:25], v[24:25], -v[26:27]
	v_add_f64 v[86:87], v[72:73], v[0:1]
	v_add_f64 v[32:33], v[0:1], v[4:5]
	;; [unrolled: 1-line block ×3, first 2 shown]
	v_add_f64 v[90:91], v[2:3], -v[6:7]
	v_add_f64 v[2:3], v[74:75], v[2:3]
	v_fma_f64 v[80:81], v[80:81], -0.5, v[68:69]
	v_add_f64 v[96:97], v[0:1], -v[4:5]
	v_fma_f64 v[82:83], v[82:83], -0.5, v[70:71]
	v_add_f64 v[88:89], v[20:21], v[22:23]
	v_fma_f64 v[120:121], v[84:85], -0.5, v[76:77]
	v_add_f64 v[20:21], v[20:21], -v[22:23]
	v_add_f64 v[8:9], v[110:111], v[18:19]
	v_fma_f64 v[132:133], v[92:93], -0.5, v[64:65]
	v_fma_f64 v[134:135], v[94:95], -0.5, v[66:67]
	v_add_f64 v[64:65], v[114:115], v[26:27]
	v_add_f64 v[66:67], v[116:117], v[30:31]
	;; [unrolled: 1-line block ×4, first 2 shown]
	v_fma_f64 v[32:33], v[32:33], -0.5, v[72:73]
	v_fma_f64 v[34:35], v[34:35], -0.5, v[74:75]
	v_add_f64 v[10:11], v[112:113], v[22:23]
	v_add_f64 v[2:3], v[2:3], v[6:7]
	v_fma_f64 v[76:77], v[12:13], s[0:1], v[80:81]
	v_fma_f64 v[80:81], v[12:13], s[2:3], v[80:81]
	buffer_load_dword v12, off, s[48:51], 0 offset:188 ; 4-byte Folded Reload
	v_add_f64 v[6:7], v[108:109], v[14:15]
	v_fma_f64 v[122:123], v[88:89], -0.5, v[78:79]
	v_fma_f64 v[78:79], v[118:119], s[2:3], v[82:83]
	v_fma_f64 v[82:83], v[118:119], s[0:1], v[82:83]
	;; [unrolled: 1-line block ×12, first 2 shown]
	s_waitcnt vmcnt(0)
	ds_write_b128 v12, v[0:3]
	ds_write_b128 v12, v[68:71] offset:624
	ds_write_b128 v12, v[72:75] offset:1248
	buffer_load_dword v0, off, s[48:51], 0 offset:184 ; 4-byte Folded Reload
	v_fma_f64 v[86:87], v[16:17], s[2:3], v[122:123]
	v_fma_f64 v[90:91], v[16:17], s[0:1], v[122:123]
	s_waitcnt vmcnt(0)
	ds_write_b128 v0, v[4:7]
	ds_write_b128 v0, v[76:79] offset:624
	ds_write_b128 v0, v[80:83] offset:1248
	buffer_load_dword v0, off, s[48:51], 0 offset:192 ; 4-byte Folded Reload
	s_waitcnt vmcnt(0)
	ds_write_b128 v0, v[8:11]
	ds_write_b128 v0, v[84:87] offset:624
	ds_write_b128 v0, v[88:91] offset:1248
	buffer_load_dword v0, off, s[48:51], 0 offset:196 ; 4-byte Folded Reload
	s_waitcnt vmcnt(0)
	ds_write_b128 v0, v[64:67]
	ds_write_b128 v0, v[92:95] offset:624
	ds_write_b128 v0, v[96:99] offset:1248
	s_and_saveexec_b32 s6, vcc_lo
	s_cbranch_execz .LBB0_17
; %bb.16:
	v_mul_f64 v[0:1], v[102:103], v[56:57]
	v_mul_f64 v[2:3], v[106:107], v[60:61]
	;; [unrolled: 1-line block ×4, first 2 shown]
	v_fma_f64 v[0:1], v[100:101], v[58:59], -v[0:1]
	v_fma_f64 v[2:3], v[104:105], v[62:63], -v[2:3]
	v_fma_f64 v[4:5], v[100:101], v[56:57], v[4:5]
	v_fma_f64 v[6:7], v[104:105], v[60:61], v[6:7]
	v_add_f64 v[14:15], v[54:55], v[0:1]
	v_add_f64 v[8:9], v[0:1], v[2:3]
	v_add_f64 v[16:17], v[0:1], -v[2:3]
	v_add_f64 v[10:11], v[4:5], v[6:7]
	v_add_f64 v[12:13], v[4:5], -v[6:7]
	v_add_f64 v[4:5], v[52:53], v[4:5]
	v_add_f64 v[2:3], v[14:15], v[2:3]
	v_fma_f64 v[8:9], v[8:9], -0.5, v[54:55]
	v_fma_f64 v[18:19], v[10:11], -0.5, v[52:53]
	v_add_f64 v[0:1], v[4:5], v[6:7]
	v_fma_f64 v[6:7], v[12:13], s[0:1], v[8:9]
	v_fma_f64 v[10:11], v[12:13], s[2:3], v[8:9]
	buffer_load_dword v13, off, s[48:51], 0 offset:164 ; 4-byte Folded Reload
	v_fma_f64 v[8:9], v[16:17], s[0:1], v[18:19]
	v_fma_f64 v[4:5], v[16:17], s[2:3], v[18:19]
	v_mov_b32_e32 v12, 4
	s_waitcnt vmcnt(0)
	v_lshlrev_b32_sdwa v12, v12, v13 dst_sel:DWORD dst_unused:UNUSED_PAD src0_sel:DWORD src1_sel:WORD_0
	ds_write_b128 v12, v[0:3] offset:22464
	ds_write_b128 v12, v[8:11] offset:23088
	;; [unrolled: 1-line block ×3, first 2 shown]
.LBB0_17:
	s_or_b32 exec_lo, exec_lo, s6
	s_waitcnt lgkmcnt(0)
	s_barrier
	buffer_gl0_inv
	ds_read_b128 v[0:3], v255 offset:1872
	ds_read_b128 v[52:55], v255
	ds_read_b128 v[4:7], v255 offset:3744
	ds_read_b128 v[8:11], v255 offset:5616
	;; [unrolled: 1-line block ×11, first 2 shown]
	s_mov_b32 s2, 0x4267c47c
	s_mov_b32 s3, 0xbfddbe06
	;; [unrolled: 1-line block ×9, first 2 shown]
	s_waitcnt lgkmcnt(10)
	v_mul_f64 v[20:21], v[142:143], v[6:7]
	s_waitcnt lgkmcnt(9)
	v_mul_f64 v[22:23], v[130:131], v[10:11]
	v_mul_f64 v[24:25], v[130:131], v[8:9]
	s_waitcnt lgkmcnt(8)
	v_mul_f64 v[26:27], v[126:127], v[14:15]
	;; [unrolled: 3-line block ×4, first 2 shown]
	v_mul_f64 v[16:17], v[162:163], v[2:3]
	v_mul_f64 v[18:19], v[162:163], v[0:1]
	s_waitcnt lgkmcnt(0)
	v_mul_f64 v[28:29], v[174:175], v[86:87]
	v_mul_f64 v[34:35], v[166:167], v[78:79]
	;; [unrolled: 1-line block ×9, first 2 shown]
	s_mov_b32 s21, 0x3fbedb7d
	s_mov_b32 s24, 0x2ef20147
	;; [unrolled: 1-line block ×4, first 2 shown]
	v_fma_f64 v[8:9], v[128:129], v[8:9], v[22:23]
	v_fma_f64 v[10:11], v[128:129], v[10:11], -v[24:25]
	v_fma_f64 v[12:13], v[124:125], v[12:13], v[26:27]
	v_fma_f64 v[14:15], v[124:125], v[14:15], -v[32:33]
	;; [unrolled: 2-line block ×3, first 2 shown]
	v_fma_f64 v[74:75], v[176:177], v[74:75], -v[96:97]
	v_fma_f64 v[16:17], v[160:161], v[0:1], v[16:17]
	v_mul_f64 v[0:1], v[142:143], v[4:5]
	v_fma_f64 v[2:3], v[160:161], v[2:3], -v[18:19]
	v_fma_f64 v[18:19], v[140:141], v[4:5], v[20:21]
	v_fma_f64 v[24:25], v[172:173], v[84:85], v[28:29]
	v_mul_f64 v[20:21], v[174:175], v[84:85]
	v_fma_f64 v[32:33], v[164:165], v[76:77], v[34:35]
	v_fma_f64 v[34:35], v[164:165], v[78:79], -v[88:89]
	v_mul_f64 v[22:23], v[170:171], v[80:81]
	v_fma_f64 v[72:73], v[176:177], v[72:73], v[94:95]
	s_mov_b32 s36, 0xd0032e0c
	s_mov_b32 s34, 0x4bc48dbf
	;; [unrolled: 1-line block ×11, first 2 shown]
	v_add_f64 v[88:89], v[14:15], v[74:75]
	v_add_f64 v[4:5], v[52:53], v[16:17]
	v_fma_f64 v[30:31], v[140:141], v[6:7], -v[0:1]
	v_add_f64 v[0:1], v[54:55], v[2:3]
	v_add_f64 v[90:91], v[14:15], -v[74:75]
	v_mul_f64 v[6:7], v[170:171], v[82:83]
	v_fma_f64 v[20:21], v[172:173], v[86:87], -v[20:21]
	v_mul_f64 v[86:87], v[150:151], v[66:67]
	v_add_f64 v[78:79], v[8:9], v[32:33]
	v_fma_f64 v[22:23], v[168:169], v[82:83], -v[22:23]
	v_add_f64 v[82:83], v[10:11], v[34:35]
	v_add_f64 v[84:85], v[8:9], -v[32:33]
	s_mov_b32 s0, s2
	s_mov_b32 s28, s24
	;; [unrolled: 1-line block ×10, first 2 shown]
	v_add_f64 v[4:5], v[4:5], v[18:19]
	v_add_f64 v[28:29], v[0:1], v[30:31]
	v_fma_f64 v[0:1], v[152:153], v[60:61], v[98:99]
	v_fma_f64 v[80:81], v[168:169], v[80:81], v[6:7]
	v_add_f64 v[60:61], v[2:3], -v[20:21]
	v_fma_f64 v[6:7], v[148:149], v[66:67], -v[102:103]
	v_fma_f64 v[66:67], v[144:145], v[70:71], -v[106:107]
	v_add_f64 v[76:77], v[30:31], v[22:23]
	v_add_f64 v[30:31], v[30:31], -v[22:23]
	v_mul_f64 v[130:131], v[82:83], s[20:21]
	v_mul_f64 v[134:135], v[82:83], s[40:41]
	v_mul_f64 v[138:139], v[82:83], s[26:27]
	v_mul_f64 v[146:147], v[82:83], s[16:17]
	v_mul_f64 v[142:143], v[82:83], s[6:7]
	v_mul_f64 v[82:83], v[82:83], s[36:37]
	v_mul_f64 v[150:151], v[90:91], s[24:25]
	v_mul_f64 v[154:155], v[90:91], s[38:39]
	v_add_f64 v[26:27], v[4:5], v[8:9]
	v_fma_f64 v[4:5], v[152:153], v[62:63], -v[100:101]
	v_add_f64 v[28:29], v[28:29], v[10:11]
	v_add_f64 v[62:63], v[2:3], v[20:21]
	v_fma_f64 v[2:3], v[148:149], v[64:65], v[86:87]
	v_fma_f64 v[64:65], v[144:145], v[68:69], v[104:105]
	v_add_f64 v[68:69], v[16:17], v[24:25]
	v_add_f64 v[8:9], v[10:11], -v[34:35]
	v_mul_f64 v[10:11], v[60:61], s[2:3]
	v_add_f64 v[16:17], v[16:17], -v[24:25]
	v_mul_f64 v[94:95], v[60:61], s[14:15]
	v_mul_f64 v[98:99], v[60:61], s[18:19]
	v_add_f64 v[70:71], v[18:19], v[80:81]
	v_mul_f64 v[102:103], v[60:61], s[24:25]
	v_mul_f64 v[104:105], v[60:61], s[30:31]
	;; [unrolled: 1-line block ×4, first 2 shown]
	v_add_f64 v[18:19], v[18:19], -v[80:81]
	v_mul_f64 v[110:111], v[76:77], s[16:17]
	v_mul_f64 v[112:113], v[30:31], s[24:25]
	;; [unrolled: 1-line block ×4, first 2 shown]
	v_add_f64 v[26:27], v[26:27], v[12:13]
	v_mul_f64 v[118:119], v[76:77], s[40:41]
	v_add_f64 v[14:15], v[28:29], v[14:15]
	v_mul_f64 v[92:93], v[62:63], s[6:7]
	v_mul_f64 v[96:97], v[62:63], s[16:17]
	;; [unrolled: 1-line block ×12, first 2 shown]
	v_fma_f64 v[8:9], v[68:69], s[6:7], v[10:11]
	v_fma_f64 v[10:11], v[68:69], s[6:7], -v[10:11]
	v_fma_f64 v[158:159], v[68:69], s[16:17], v[94:95]
	v_fma_f64 v[94:95], v[68:69], s[16:17], -v[94:95]
	v_fma_f64 v[162:163], v[68:69], s[20:21], v[98:99]
	v_mul_f64 v[120:121], v[30:31], s[38:39]
	v_mul_f64 v[122:123], v[76:77], s[36:37]
	v_add_f64 v[26:27], v[26:27], v[56:57]
	v_mul_f64 v[124:125], v[30:31], s[22:23]
	v_add_f64 v[14:15], v[14:15], v[58:59]
	v_fma_f64 v[156:157], v[16:17], s[0:1], v[92:93]
	v_fma_f64 v[92:93], v[16:17], s[2:3], v[92:93]
	;; [unrolled: 1-line block ×5, first 2 shown]
	v_mul_f64 v[126:127], v[76:77], s[20:21]
	v_mul_f64 v[30:31], v[30:31], s[0:1]
	;; [unrolled: 1-line block ×3, first 2 shown]
	v_fma_f64 v[98:99], v[68:69], s[20:21], -v[98:99]
	v_fma_f64 v[100:101], v[16:17], s[18:19], v[100:101]
	v_fma_f64 v[166:167], v[68:69], s[26:27], v[102:103]
	;; [unrolled: 1-line block ×3, first 2 shown]
	v_fma_f64 v[102:103], v[68:69], s[26:27], -v[102:103]
	v_fma_f64 v[28:29], v[16:17], s[24:25], v[28:29]
	v_fma_f64 v[170:171], v[68:69], s[36:37], v[104:105]
	;; [unrolled: 1-line block ×3, first 2 shown]
	v_fma_f64 v[104:105], v[68:69], s[36:37], -v[104:105]
	v_fma_f64 v[106:107], v[16:17], s[30:31], v[106:107]
	v_fma_f64 v[174:175], v[68:69], s[40:41], v[60:61]
	v_add_f64 v[26:27], v[26:27], v[0:1]
	v_fma_f64 v[176:177], v[16:17], s[42:43], v[62:63]
	v_add_f64 v[14:15], v[14:15], v[4:5]
	v_fma_f64 v[60:61], v[68:69], s[40:41], -v[60:61]
	v_fma_f64 v[16:17], v[16:17], s[34:35], v[62:63]
	v_fma_f64 v[62:63], v[70:71], s[16:17], v[108:109]
	v_add_f64 v[8:9], v[52:53], v[8:9]
	v_fma_f64 v[68:69], v[18:19], s[12:13], v[110:111]
	v_fma_f64 v[108:109], v[70:71], s[16:17], -v[108:109]
	v_fma_f64 v[110:111], v[18:19], s[14:15], v[110:111]
	v_fma_f64 v[178:179], v[70:71], s[26:27], v[112:113]
	;; [unrolled: 1-line block ×3, first 2 shown]
	v_fma_f64 v[112:113], v[70:71], s[26:27], -v[112:113]
	v_fma_f64 v[114:115], v[18:19], s[24:25], v[114:115]
	v_fma_f64 v[182:183], v[70:71], s[40:41], v[116:117]
	;; [unrolled: 1-line block ×3, first 2 shown]
	v_add_f64 v[156:157], v[54:55], v[156:157]
	v_add_f64 v[10:11], v[52:53], v[10:11]
	;; [unrolled: 1-line block ×9, first 2 shown]
	v_fma_f64 v[116:117], v[70:71], s[40:41], -v[116:117]
	v_fma_f64 v[118:119], v[18:19], s[34:35], v[118:119]
	v_fma_f64 v[186:187], v[70:71], s[36:37], v[120:121]
	v_fma_f64 v[188:189], v[18:19], s[30:31], v[122:123]
	v_fma_f64 v[120:121], v[70:71], s[36:37], -v[120:121]
	v_fma_f64 v[122:123], v[18:19], s[38:39], v[122:123]
	v_fma_f64 v[190:191], v[70:71], s[20:21], v[124:125]
	v_fma_f64 v[192:193], v[18:19], s[18:19], v[126:127]
	;; [unrolled: 4-line block ×3, first 2 shown]
	v_fma_f64 v[30:31], v[70:71], s[6:7], -v[30:31]
	v_fma_f64 v[18:19], v[18:19], s[0:1], v[76:77]
	v_fma_f64 v[70:71], v[78:79], s[20:21], v[128:129]
	v_add_f64 v[158:159], v[52:53], v[158:159]
	v_add_f64 v[98:99], v[52:53], v[98:99]
	v_add_f64 v[100:101], v[54:55], v[100:101]
	v_add_f64 v[166:167], v[52:53], v[166:167]
	v_add_f64 v[26:27], v[26:27], v[64:65]
	v_add_f64 v[102:103], v[52:53], v[102:103]
	v_add_f64 v[14:15], v[14:15], v[66:67]
	v_add_f64 v[170:171], v[52:53], v[170:171]
	v_add_f64 v[16:17], v[54:55], v[16:17]
	v_add_f64 v[8:9], v[62:63], v[8:9]
	v_add_f64 v[172:173], v[54:55], v[172:173]
	v_add_f64 v[168:169], v[54:55], v[168:169]
	v_add_f64 v[86:87], v[12:13], v[72:73]
	v_add_f64 v[12:13], v[12:13], -v[72:73]
	v_mul_f64 v[152:153], v[88:89], s[26:27]
	v_fma_f64 v[76:77], v[78:79], s[20:21], -v[128:129]
	v_fma_f64 v[128:129], v[84:85], s[18:19], v[130:131]
	v_fma_f64 v[198:199], v[84:85], s[42:43], v[134:135]
	;; [unrolled: 1-line block ×5, first 2 shown]
	v_add_f64 v[160:161], v[54:55], v[160:161]
	v_add_f64 v[28:29], v[54:55], v[28:29]
	v_add_f64 v[10:11], v[108:109], v[10:11]
	v_add_f64 v[108:109], v[184:185], v[164:165]
	v_fma_f64 v[138:139], v[84:85], s[28:29], v[138:139]
	v_add_f64 v[26:27], v[26:27], v[72:73]
	v_fma_f64 v[72:73], v[84:85], s[22:23], v[130:131]
	v_add_f64 v[14:15], v[14:15], v[74:75]
	v_fma_f64 v[130:131], v[78:79], s[40:41], v[132:133]
	v_fma_f64 v[132:133], v[78:79], s[40:41], -v[132:133]
	v_fma_f64 v[204:205], v[78:79], s[6:7], v[140:141]
	v_add_f64 v[100:101], v[118:119], v[100:101]
	v_add_f64 v[16:17], v[18:19], v[16:17]
	;; [unrolled: 1-line block ×3, first 2 shown]
	v_fma_f64 v[136:137], v[78:79], s[26:27], -v[136:137]
	v_fma_f64 v[210:211], v[84:85], s[12:13], v[146:147]
	v_add_f64 v[98:99], v[116:117], v[98:99]
	v_fma_f64 v[206:207], v[84:85], s[2:3], v[142:143]
	v_fma_f64 v[74:75], v[78:79], s[36:37], v[148:149]
	v_add_f64 v[62:63], v[178:179], v[158:159]
	v_fma_f64 v[140:141], v[78:79], s[6:7], -v[140:141]
	v_fma_f64 v[208:209], v[78:79], s[16:17], v[144:145]
	v_fma_f64 v[144:145], v[78:79], s[16:17], -v[144:145]
	v_fma_f64 v[142:143], v[84:85], s[0:1], v[142:143]
	v_fma_f64 v[146:147], v[84:85], s[14:15], v[146:147]
	v_add_f64 v[118:119], v[56:57], v[64:65]
	v_add_f64 v[56:57], v[56:57], -v[64:65]
	v_add_f64 v[26:27], v[26:27], v[32:33]
	v_fma_f64 v[32:33], v[84:85], s[38:39], v[82:83]
	v_add_f64 v[14:15], v[14:15], v[34:35]
	v_add_f64 v[34:35], v[52:53], v[104:105]
	v_add_f64 v[104:105], v[54:55], v[106:107]
	v_add_f64 v[106:107], v[52:53], v[174:175]
	v_add_f64 v[52:53], v[52:53], v[60:61]
	v_add_f64 v[174:175], v[54:55], v[176:177]
	v_add_f64 v[54:55], v[68:69], v[156:157]
	v_add_f64 v[60:61], v[110:111], v[92:93]
	v_add_f64 v[92:93], v[112:113], v[94:95]
	v_add_f64 v[94:95], v[114:115], v[96:97]
	v_add_f64 v[96:97], v[182:183], v[162:163]
	v_add_f64 v[110:111], v[186:187], v[166:167]
	v_add_f64 v[112:113], v[188:189], v[168:169]
	v_add_f64 v[68:69], v[180:181], v[160:161]
	v_fma_f64 v[82:83], v[84:85], s[30:31], v[82:83]
	v_add_f64 v[62:63], v[130:131], v[62:63]
	v_add_f64 v[28:29], v[122:123], v[28:29]
	;; [unrolled: 1-line block ×16, first 2 shown]
	v_fma_f64 v[94:95], v[86:87], s[26:27], v[150:151]
	v_fma_f64 v[96:97], v[12:13], s[28:29], v[152:153]
	v_mul_f64 v[108:109], v[90:91], s[0:1]
	v_add_f64 v[60:61], v[128:129], v[60:61]
	v_add_f64 v[84:85], v[206:207], v[112:113]
	v_mul_f64 v[112:113], v[90:91], s[18:19]
	v_add_f64 v[34:35], v[124:125], v[34:35]
	v_add_f64 v[104:105], v[126:127], v[104:105]
	;; [unrolled: 1-line block ×3, first 2 shown]
	v_fma_f64 v[24:25], v[78:79], s[36:37], -v[148:149]
	v_mul_f64 v[78:79], v[88:89], s[36:37]
	v_add_f64 v[10:11], v[14:15], v[20:21]
	v_add_f64 v[20:21], v[138:139], v[100:101]
	;; [unrolled: 1-line block ×3, first 2 shown]
	v_fma_f64 v[100:101], v[86:87], s[26:27], -v[150:151]
	v_mul_f64 v[110:111], v[88:89], s[6:7]
	v_add_f64 v[14:15], v[136:137], v[98:99]
	v_add_f64 v[98:99], v[210:211], v[102:103]
	v_fma_f64 v[102:103], v[12:13], s[24:25], v[152:153]
	v_add_f64 v[74:75], v[74:75], v[106:107]
	v_fma_f64 v[106:107], v[86:87], s[36:37], v[154:155]
	v_add_f64 v[68:69], v[198:199], v[68:69]
	v_add_f64 v[32:33], v[32:33], v[114:115]
	v_mul_f64 v[114:115], v[88:89], s[20:21]
	v_add_f64 v[16:17], v[82:83], v[16:17]
	v_add_f64 v[18:19], v[94:95], v[18:19]
	;; [unrolled: 1-line block ×3, first 2 shown]
	v_fma_f64 v[82:83], v[86:87], s[36:37], -v[154:155]
	v_mul_f64 v[94:95], v[88:89], s[40:41]
	v_fma_f64 v[96:97], v[86:87], s[6:7], v[108:109]
	v_mul_f64 v[88:89], v[88:89], s[16:17]
	v_add_f64 v[24:25], v[24:25], v[30:31]
	v_add_f64 v[30:31], v[58:59], -v[66:67]
	v_add_f64 v[58:59], v[58:59], v[66:67]
	v_fma_f64 v[116:117], v[12:13], s[30:31], v[78:79]
	v_mul_f64 v[66:67], v[90:91], s[42:43]
	v_fma_f64 v[78:79], v[12:13], s[38:39], v[78:79]
	v_add_f64 v[54:55], v[100:101], v[54:55]
	v_fma_f64 v[100:101], v[12:13], s[2:3], v[110:111]
	v_mul_f64 v[90:91], v[90:91], s[12:13]
	v_add_f64 v[60:61], v[102:103], v[60:61]
	v_fma_f64 v[102:103], v[86:87], s[6:7], -v[108:109]
	v_add_f64 v[62:63], v[106:107], v[62:63]
	v_fma_f64 v[106:107], v[86:87], s[20:21], v[112:113]
	v_add_f64 v[34:35], v[144:145], v[34:35]
	v_add_f64 v[104:105], v[146:147], v[104:105]
	v_fma_f64 v[108:109], v[12:13], s[0:1], v[110:111]
	v_fma_f64 v[110:111], v[12:13], s[22:23], v[114:115]
	;; [unrolled: 1-line block ×3, first 2 shown]
	v_add_f64 v[70:71], v[82:83], v[70:71]
	v_fma_f64 v[82:83], v[12:13], s[42:43], v[94:95]
	v_add_f64 v[76:77], v[96:97], v[76:77]
	v_fma_f64 v[96:97], v[12:13], s[14:15], v[88:89]
	v_fma_f64 v[112:113], v[86:87], s[20:21], -v[112:113]
	v_mul_f64 v[120:121], v[30:31], s[30:31]
	v_mul_f64 v[64:65], v[58:59], s[36:37]
	v_add_f64 v[68:69], v[116:117], v[68:69]
	v_fma_f64 v[116:117], v[86:87], s[40:41], v[66:67]
	v_add_f64 v[72:73], v[78:79], v[72:73]
	v_fma_f64 v[78:79], v[12:13], s[34:35], v[94:95]
	v_fma_f64 v[66:67], v[86:87], s[40:41], -v[66:67]
	v_fma_f64 v[12:13], v[12:13], s[12:13], v[88:89]
	v_add_f64 v[92:93], v[100:101], v[92:93]
	v_fma_f64 v[94:95], v[86:87], s[16:17], v[90:91]
	v_fma_f64 v[86:87], v[86:87], s[16:17], -v[90:91]
	v_mul_f64 v[90:91], v[30:31], s[22:23]
	v_mul_f64 v[100:101], v[58:59], s[20:21]
	v_add_f64 v[14:15], v[102:103], v[14:15]
	v_add_f64 v[26:27], v[106:107], v[26:27]
	v_mul_f64 v[106:107], v[30:31], s[14:15]
	v_add_f64 v[22:23], v[140:141], v[22:23]
	v_add_f64 v[80:81], v[208:209], v[80:81]
	;; [unrolled: 1-line block ×3, first 2 shown]
	v_mul_f64 v[108:109], v[58:59], s[16:17]
	v_add_f64 v[28:29], v[142:143], v[28:29]
	v_add_f64 v[32:33], v[96:97], v[32:33]
	v_fma_f64 v[88:89], v[118:119], s[36:37], v[120:121]
	v_fma_f64 v[102:103], v[56:57], s[38:39], v[64:65]
	;; [unrolled: 1-line block ×3, first 2 shown]
	v_add_f64 v[84:85], v[110:111], v[84:85]
	v_add_f64 v[78:79], v[78:79], v[98:99]
	v_add_f64 v[34:35], v[66:67], v[34:35]
	v_add_f64 v[66:67], v[82:83], v[104:105]
	v_fma_f64 v[82:83], v[118:119], s[36:37], -v[120:121]
	v_mul_f64 v[98:99], v[30:31], s[42:43]
	v_mul_f64 v[104:105], v[58:59], s[40:41]
	v_add_f64 v[12:13], v[12:13], v[16:17]
	v_add_f64 v[16:17], v[4:5], -v[6:7]
	v_add_f64 v[4:5], v[4:5], v[6:7]
	v_add_f64 v[74:75], v[94:95], v[74:75]
	v_add_f64 v[24:25], v[86:87], v[24:25]
	v_fma_f64 v[86:87], v[56:57], s[18:19], v[100:101]
	v_mul_f64 v[94:95], v[30:31], s[0:1]
	v_fma_f64 v[96:97], v[118:119], s[16:17], v[106:107]
	v_fma_f64 v[106:107], v[118:119], s[16:17], -v[106:107]
	v_add_f64 v[22:23], v[112:113], v[22:23]
	v_add_f64 v[80:81], v[116:117], v[80:81]
	v_add_f64 v[6:7], v[88:89], v[18:19]
	v_fma_f64 v[18:19], v[118:119], s[20:21], v[90:91]
	v_fma_f64 v[88:89], v[118:119], s[20:21], -v[90:91]
	v_add_f64 v[52:53], v[102:103], v[52:53]
	v_mul_f64 v[102:103], v[58:59], s[6:7]
	v_fma_f64 v[90:91], v[56:57], s[22:23], v[100:101]
	v_fma_f64 v[100:101], v[56:57], s[12:13], v[108:109]
	v_add_f64 v[112:113], v[64:65], v[60:61]
	v_add_f64 v[54:55], v[82:83], v[54:55]
	v_fma_f64 v[82:83], v[118:119], s[40:41], v[98:99]
	v_fma_f64 v[110:111], v[56:57], s[34:35], v[104:105]
	v_mul_f64 v[30:31], v[30:31], s[24:25]
	v_mul_f64 v[58:59], v[58:59], s[26:27]
	v_add_f64 v[64:65], v[0:1], -v[2:3]
	v_mul_f64 v[116:117], v[4:5], s[40:41]
	v_add_f64 v[28:29], v[114:115], v[28:29]
	v_add_f64 v[60:61], v[0:1], v[2:3]
	v_mul_f64 v[114:115], v[16:17], s[34:35]
	v_fma_f64 v[108:109], v[56:57], s[14:15], v[108:109]
	v_fma_f64 v[0:1], v[118:119], s[40:41], -v[98:99]
	v_fma_f64 v[2:3], v[56:57], s[42:43], v[104:105]
	v_mul_f64 v[98:99], v[16:17], s[0:1]
	v_mul_f64 v[104:105], v[4:5], s[36:37]
	v_add_f64 v[18:19], v[18:19], v[62:63]
	v_add_f64 v[62:63], v[86:87], v[68:69]
	;; [unrolled: 1-line block ×3, first 2 shown]
	v_fma_f64 v[70:71], v[118:119], s[6:7], v[94:95]
	v_fma_f64 v[86:87], v[56:57], s[2:3], v[102:103]
	v_add_f64 v[88:89], v[90:91], v[72:73]
	v_add_f64 v[90:91], v[106:107], v[14:15]
	v_fma_f64 v[14:15], v[118:119], s[6:7], -v[94:95]
	v_add_f64 v[72:73], v[96:97], v[76:77]
	v_add_f64 v[76:77], v[100:101], v[92:93]
	;; [unrolled: 1-line block ×4, first 2 shown]
	v_fma_f64 v[84:85], v[56:57], s[0:1], v[102:103]
	v_fma_f64 v[92:93], v[118:119], s[26:27], v[30:31]
	;; [unrolled: 1-line block ×3, first 2 shown]
	v_fma_f64 v[30:31], v[118:119], s[26:27], -v[30:31]
	v_fma_f64 v[56:57], v[56:57], s[24:25], v[58:59]
	v_fma_f64 v[96:97], v[64:65], s[42:43], v[116:117]
	v_mul_f64 v[100:101], v[4:5], s[6:7]
	v_fma_f64 v[58:59], v[60:61], s[40:41], v[114:115]
	v_mul_f64 v[102:103], v[16:17], s[30:31]
	v_mul_f64 v[106:107], v[4:5], s[16:17]
	v_add_f64 v[20:21], v[108:109], v[20:21]
	v_mul_f64 v[108:109], v[4:5], s[26:27]
	v_mul_f64 v[4:5], v[4:5], s[20:21]
	v_add_f64 v[70:71], v[70:71], v[80:81]
	v_mul_f64 v[80:81], v[16:17], s[12:13]
	v_add_f64 v[78:79], v[86:87], v[78:79]
	v_mul_f64 v[86:87], v[16:17], s[24:25]
	v_add_f64 v[34:35], v[14:15], v[34:35]
	v_mul_f64 v[14:15], v[16:17], s[22:23]
	v_add_f64 v[28:29], v[2:3], v[28:29]
	v_add_f64 v[22:23], v[0:1], v[22:23]
	v_fma_f64 v[116:117], v[64:65], s[34:35], v[116:117]
	v_add_f64 v[16:17], v[84:85], v[66:67]
	v_fma_f64 v[66:67], v[64:65], s[38:39], v[104:105]
	v_add_f64 v[84:85], v[92:93], v[74:75]
	v_add_f64 v[24:25], v[30:31], v[24:25]
	;; [unrolled: 1-line block ×4, first 2 shown]
	v_fma_f64 v[12:13], v[60:61], s[6:7], v[98:99]
	v_fma_f64 v[52:53], v[64:65], s[2:3], v[100:101]
	v_add_f64 v[0:1], v[58:59], v[6:7]
	v_fma_f64 v[56:57], v[60:61], s[6:7], -v[98:99]
	v_fma_f64 v[58:59], v[60:61], s[36:37], v[102:103]
	v_add_f64 v[32:33], v[94:95], v[32:33]
	v_fma_f64 v[94:95], v[64:65], s[14:15], v[106:107]
	v_fma_f64 v[74:75], v[60:61], s[36:37], -v[102:103]
	v_fma_f64 v[92:93], v[60:61], s[16:17], v[80:81]
	v_fma_f64 v[98:99], v[64:65], s[28:29], v[108:109]
	;; [unrolled: 1-line block ×3, first 2 shown]
	v_fma_f64 v[80:81], v[60:61], s[16:17], -v[80:81]
	v_fma_f64 v[102:103], v[60:61], s[20:21], v[14:15]
	v_fma_f64 v[110:111], v[64:65], s[18:19], v[4:5]
	v_fma_f64 v[6:7], v[60:61], s[40:41], -v[114:115]
	v_fma_f64 v[86:87], v[60:61], s[26:27], -v[86:87]
	;; [unrolled: 1-line block ×3, first 2 shown]
	v_fma_f64 v[118:119], v[64:65], s[22:23], v[4:5]
	v_fma_f64 v[108:109], v[64:65], s[24:25], v[108:109]
	;; [unrolled: 1-line block ×5, first 2 shown]
	v_add_f64 v[12:13], v[12:13], v[18:19]
	v_add_f64 v[14:15], v[52:53], v[62:63]
	s_mov_b32 s0, 0x509ee28c
	v_add_f64 v[52:53], v[56:57], v[68:69]
	v_add_f64 v[56:57], v[58:59], v[72:73]
	;; [unrolled: 1-line block ×20, first 2 shown]
	ds_write_b128 v255, v[8:11]
	ds_write_b128 v255, v[0:3] offset:1872
	ds_write_b128 v255, v[12:15] offset:3744
	;; [unrolled: 1-line block ×12, first 2 shown]
	s_waitcnt lgkmcnt(0)
	s_barrier
	buffer_gl0_inv
	ds_read_b128 v[0:3], v255
	ds_read_b128 v[4:7], v255 offset:1872
	s_clause 0x3
	buffer_load_dword v52, off, s[48:51], 0 offset:12
	buffer_load_dword v53, off, s[48:51], 0 offset:16
	;; [unrolled: 1-line block ×4, first 2 shown]
	ds_read_b128 v[8:11], v255 offset:3744
	s_clause 0x1
	buffer_load_dword v14, off, s[48:51], 0
	buffer_load_dword v15, off, s[48:51], 0 offset:4
	s_mov_b32 s1, 0x3f458b31
	s_mul_i32 s2, s9, 0x750
	s_mul_hi_u32 s3, s8, 0x750
	s_add_i32 s2, s3, s2
	s_mul_i32 s3, s8, 0x750
	s_waitcnt vmcnt(2) lgkmcnt(2)
	v_mul_f64 v[12:13], v[54:55], v[2:3]
	v_mul_f64 v[16:17], v[54:55], v[0:1]
	s_clause 0x3
	buffer_load_dword v54, off, s[48:51], 0 offset:44
	buffer_load_dword v55, off, s[48:51], 0 offset:48
	;; [unrolled: 1-line block ×4, first 2 shown]
	s_waitcnt vmcnt(5)
	v_mov_b32_e32 v32, v14
	buffer_load_dword v34, off, s[48:51], 0 offset:8 ; 4-byte Folded Reload
	v_mad_u64_u32 v[18:19], null, s10, v32, 0
	v_fma_f64 v[20:21], v[52:53], v[0:1], v[12:13]
	s_waitcnt vmcnt(5)
	ds_read_b128 v[12:15], v255 offset:5616
	v_mov_b32_e32 v0, v19
	v_fma_f64 v[16:17], v[52:53], v[2:3], -v[16:17]
	v_mad_u64_u32 v[32:33], null, s11, v32, v[0:1]
	s_waitcnt vmcnt(1) lgkmcnt(2)
	v_mul_f64 v[22:23], v[56:57], v[6:7]
	v_mul_f64 v[24:25], v[56:57], v[4:5]
	s_clause 0x3
	buffer_load_dword v56, off, s[48:51], 0 offset:124
	buffer_load_dword v57, off, s[48:51], 0 offset:128
	;; [unrolled: 1-line block ×4, first 2 shown]
	ds_read_b128 v[0:3], v255 offset:7488
	s_waitcnt vmcnt(4)
	v_mad_u64_u32 v[26:27], null, s8, v34, 0
	v_mov_b32_e32 v19, v27
	v_mad_u64_u32 v[33:34], null, s9, v34, v[19:20]
	v_mov_b32_e32 v19, v32
	v_fma_f64 v[22:23], v[54:55], v[4:5], v[22:23]
	v_mul_f64 v[4:5], v[20:21], s[0:1]
	v_fma_f64 v[24:25], v[54:55], v[6:7], -v[24:25]
	v_mov_b32_e32 v27, v33
	v_lshlrev_b64 v[18:19], 4, v[18:19]
	v_mul_f64 v[6:7], v[16:17], s[0:1]
	v_lshlrev_b64 v[16:17], 4, v[26:27]
	v_add_co_u32 v26, vcc_lo, s4, v18
	v_add_co_ci_u32_e32 v27, vcc_lo, s5, v19, vcc_lo
	v_add_co_u32 v16, vcc_lo, v26, v16
	v_add_co_ci_u32_e32 v17, vcc_lo, v27, v17, vcc_lo
	v_mul_f64 v[26:27], v[22:23], s[0:1]
	s_waitcnt vmcnt(0) lgkmcnt(2)
	v_mul_f64 v[28:29], v[58:59], v[10:11]
	v_mul_f64 v[30:31], v[58:59], v[8:9]
	s_clause 0x3
	buffer_load_dword v58, off, s[48:51], 0 offset:76
	buffer_load_dword v59, off, s[48:51], 0 offset:80
	;; [unrolled: 1-line block ×4, first 2 shown]
	v_fma_f64 v[20:21], v[56:57], v[8:9], v[28:29]
	v_fma_f64 v[30:31], v[56:57], v[10:11], -v[30:31]
	ds_read_b128 v[8:11], v255 offset:9360
	v_mul_f64 v[28:29], v[24:25], s[0:1]
	v_add_co_u32 v24, vcc_lo, v16, s3
	v_add_co_ci_u32_e32 v25, vcc_lo, s2, v17, vcc_lo
	v_mul_f64 v[52:53], v[20:21], s[0:1]
	v_mul_f64 v[54:55], v[30:31], s[0:1]
	s_waitcnt vmcnt(0) lgkmcnt(2)
	v_mul_f64 v[32:33], v[60:61], v[14:15]
	v_mul_f64 v[34:35], v[60:61], v[12:13]
	s_clause 0x3
	buffer_load_dword v60, off, s[48:51], 0 offset:108
	buffer_load_dword v61, off, s[48:51], 0 offset:112
	;; [unrolled: 1-line block ×4, first 2 shown]
	v_fma_f64 v[20:21], v[58:59], v[12:13], v[32:33]
	v_fma_f64 v[22:23], v[58:59], v[14:15], -v[34:35]
	ds_read_b128 v[12:15], v255 offset:11232
	s_clause 0x3
	buffer_load_dword v68, off, s[48:51], 0 offset:28
	buffer_load_dword v69, off, s[48:51], 0 offset:32
	;; [unrolled: 1-line block ×4, first 2 shown]
	v_add_co_u32 v34, vcc_lo, v24, s3
	v_add_co_ci_u32_e32 v35, vcc_lo, s2, v25, vcc_lo
	global_store_dwordx4 v[16:17], v[4:7], off
	v_mul_f64 v[4:5], v[20:21], s[0:1]
	v_mul_f64 v[6:7], v[22:23], s[0:1]
	s_waitcnt vmcnt(4) lgkmcnt(2)
	v_mul_f64 v[56:57], v[62:63], v[2:3]
	v_mul_f64 v[18:19], v[62:63], v[0:1]
	v_fma_f64 v[32:33], v[60:61], v[0:1], v[56:57]
	v_fma_f64 v[58:59], v[60:61], v[2:3], -v[18:19]
	ds_read_b128 v[0:3], v255 offset:13104
	global_store_dwordx4 v[24:25], v[26:29], off
	global_store_dwordx4 v[34:35], v[52:55], off
	s_clause 0x3
	buffer_load_dword v72, off, s[48:51], 0 offset:60
	buffer_load_dword v73, off, s[48:51], 0 offset:64
	;; [unrolled: 1-line block ×4, first 2 shown]
	ds_read_b128 v[16:19], v255 offset:14976
	ds_read_b128 v[24:27], v255 offset:16848
	;; [unrolled: 1-line block ×5, first 2 shown]
	s_clause 0x3
	buffer_load_dword v76, off, s[48:51], 0 offset:92
	buffer_load_dword v77, off, s[48:51], 0 offset:96
	;; [unrolled: 1-line block ×4, first 2 shown]
	s_waitcnt vmcnt(8) lgkmcnt(7)
	v_mul_f64 v[64:65], v[70:71], v[10:11]
	v_mul_f64 v[66:67], v[70:71], v[8:9]
	v_add_co_u32 v34, vcc_lo, v34, s3
	v_add_co_ci_u32_e32 v35, vcc_lo, s2, v35, vcc_lo
	v_mul_f64 v[56:57], v[32:33], s[0:1]
	v_mul_f64 v[58:59], v[58:59], s[0:1]
	v_fma_f64 v[8:9], v[68:69], v[8:9], v[64:65]
	v_fma_f64 v[10:11], v[68:69], v[10:11], -v[66:67]
	v_add_co_u32 v66, vcc_lo, v34, s3
	v_add_co_ci_u32_e32 v67, vcc_lo, s2, v35, vcc_lo
	s_waitcnt vmcnt(4) lgkmcnt(6)
	v_mul_f64 v[20:21], v[74:75], v[14:15]
	v_mul_f64 v[22:23], v[74:75], v[12:13]
	s_waitcnt lgkmcnt(0)
	v_mul_f64 v[74:75], v[50:51], v[62:63]
	v_mul_f64 v[50:51], v[50:51], v[60:61]
	s_waitcnt vmcnt(0)
	v_mul_f64 v[32:33], v[78:79], v[2:3]
	v_mul_f64 v[64:65], v[78:79], v[0:1]
	s_clause 0x3
	buffer_load_dword v78, off, s[48:51], 0 offset:140
	buffer_load_dword v79, off, s[48:51], 0 offset:144
	;; [unrolled: 1-line block ×4, first 2 shown]
	global_store_dwordx4 v[34:35], v[4:7], off
	global_store_dwordx4 v[66:67], v[56:59], off
	v_mul_f64 v[4:5], v[8:9], s[0:1]
	v_mul_f64 v[6:7], v[10:11], s[0:1]
	v_fma_f64 v[12:13], v[72:73], v[12:13], v[20:21]
	v_fma_f64 v[14:15], v[72:73], v[14:15], -v[22:23]
	v_mul_f64 v[20:21], v[38:39], v[26:27]
	v_mul_f64 v[22:23], v[38:39], v[24:25]
	;; [unrolled: 1-line block ×6, first 2 shown]
	v_fma_f64 v[8:9], v[76:77], v[0:1], v[32:33]
	v_fma_f64 v[10:11], v[76:77], v[2:3], -v[64:65]
	v_fma_f64 v[34:35], v[48:49], v[60:61], v[74:75]
	v_add_co_u32 v32, vcc_lo, v66, s3
	v_add_co_ci_u32_e32 v33, vcc_lo, s2, v67, vcc_lo
	global_store_dwordx4 v[32:33], v[4:7], off
	v_mul_f64 v[0:1], v[12:13], s[0:1]
	v_mul_f64 v[2:3], v[14:15], s[0:1]
	v_fma_f64 v[20:21], v[36:37], v[24:25], v[20:21]
	v_fma_f64 v[22:23], v[36:37], v[26:27], -v[22:23]
	v_fma_f64 v[24:25], v[40:41], v[28:29], v[38:39]
	v_fma_f64 v[26:27], v[40:41], v[30:31], -v[42:43]
	;; [unrolled: 2-line block ×3, first 2 shown]
	v_fma_f64 v[36:37], v[48:49], v[62:63], -v[50:51]
	v_add_co_u32 v38, vcc_lo, v32, s3
	v_add_co_ci_u32_e32 v39, vcc_lo, s2, v33, vcc_lo
	v_mul_f64 v[8:9], v[8:9], s[0:1]
	v_add_co_u32 v40, vcc_lo, v38, s3
	v_add_co_ci_u32_e32 v41, vcc_lo, s2, v39, vcc_lo
	v_mul_f64 v[10:11], v[10:11], s[0:1]
	v_add_co_u32 v42, vcc_lo, v40, s3
	v_add_co_ci_u32_e32 v43, vcc_lo, s2, v41, vcc_lo
	global_store_dwordx4 v[38:39], v[0:3], off
	global_store_dwordx4 v[40:41], v[8:11], off
	s_waitcnt vmcnt(0)
	v_mul_f64 v[68:69], v[80:81], v[18:19]
	v_mul_f64 v[70:71], v[80:81], v[16:17]
	v_fma_f64 v[16:17], v[78:79], v[16:17], v[68:69]
	v_fma_f64 v[18:19], v[78:79], v[18:19], -v[70:71]
	v_mul_f64 v[12:13], v[16:17], s[0:1]
	v_mul_f64 v[14:15], v[18:19], s[0:1]
	;; [unrolled: 1-line block ×10, first 2 shown]
	v_add_co_u32 v34, vcc_lo, v42, s3
	v_add_co_ci_u32_e32 v35, vcc_lo, s2, v43, vcc_lo
	v_add_co_u32 v4, vcc_lo, v34, s3
	v_add_co_ci_u32_e32 v5, vcc_lo, s2, v35, vcc_lo
	;; [unrolled: 2-line block ×4, first 2 shown]
	global_store_dwordx4 v[42:43], v[12:15], off
	global_store_dwordx4 v[34:35], v[16:19], off
	;; [unrolled: 1-line block ×5, first 2 shown]
.LBB0_18:
	s_endpgm
	.section	.rodata,"a",@progbits
	.p2align	6, 0x0
	.amdhsa_kernel bluestein_single_back_len1521_dim1_dp_op_CI_CI
		.amdhsa_group_segment_fixed_size 24336
		.amdhsa_private_segment_fixed_size 204
		.amdhsa_kernarg_size 104
		.amdhsa_user_sgpr_count 6
		.amdhsa_user_sgpr_private_segment_buffer 1
		.amdhsa_user_sgpr_dispatch_ptr 0
		.amdhsa_user_sgpr_queue_ptr 0
		.amdhsa_user_sgpr_kernarg_segment_ptr 1
		.amdhsa_user_sgpr_dispatch_id 0
		.amdhsa_user_sgpr_flat_scratch_init 0
		.amdhsa_user_sgpr_private_segment_size 0
		.amdhsa_wavefront_size32 1
		.amdhsa_uses_dynamic_stack 0
		.amdhsa_system_sgpr_private_segment_wavefront_offset 1
		.amdhsa_system_sgpr_workgroup_id_x 1
		.amdhsa_system_sgpr_workgroup_id_y 0
		.amdhsa_system_sgpr_workgroup_id_z 0
		.amdhsa_system_sgpr_workgroup_info 0
		.amdhsa_system_vgpr_workitem_id 0
		.amdhsa_next_free_vgpr 256
		.amdhsa_next_free_sgpr 52
		.amdhsa_reserve_vcc 1
		.amdhsa_reserve_flat_scratch 0
		.amdhsa_float_round_mode_32 0
		.amdhsa_float_round_mode_16_64 0
		.amdhsa_float_denorm_mode_32 3
		.amdhsa_float_denorm_mode_16_64 3
		.amdhsa_dx10_clamp 1
		.amdhsa_ieee_mode 1
		.amdhsa_fp16_overflow 0
		.amdhsa_workgroup_processor_mode 1
		.amdhsa_memory_ordered 1
		.amdhsa_forward_progress 0
		.amdhsa_shared_vgpr_count 0
		.amdhsa_exception_fp_ieee_invalid_op 0
		.amdhsa_exception_fp_denorm_src 0
		.amdhsa_exception_fp_ieee_div_zero 0
		.amdhsa_exception_fp_ieee_overflow 0
		.amdhsa_exception_fp_ieee_underflow 0
		.amdhsa_exception_fp_ieee_inexact 0
		.amdhsa_exception_int_div_zero 0
	.end_amdhsa_kernel
	.text
.Lfunc_end0:
	.size	bluestein_single_back_len1521_dim1_dp_op_CI_CI, .Lfunc_end0-bluestein_single_back_len1521_dim1_dp_op_CI_CI
                                        ; -- End function
	.section	.AMDGPU.csdata,"",@progbits
; Kernel info:
; codeLenInByte = 26304
; NumSgprs: 54
; NumVgprs: 256
; ScratchSize: 204
; MemoryBound: 0
; FloatMode: 240
; IeeeMode: 1
; LDSByteSize: 24336 bytes/workgroup (compile time only)
; SGPRBlocks: 6
; VGPRBlocks: 31
; NumSGPRsForWavesPerEU: 54
; NumVGPRsForWavesPerEU: 256
; Occupancy: 4
; WaveLimiterHint : 1
; COMPUTE_PGM_RSRC2:SCRATCH_EN: 1
; COMPUTE_PGM_RSRC2:USER_SGPR: 6
; COMPUTE_PGM_RSRC2:TRAP_HANDLER: 0
; COMPUTE_PGM_RSRC2:TGID_X_EN: 1
; COMPUTE_PGM_RSRC2:TGID_Y_EN: 0
; COMPUTE_PGM_RSRC2:TGID_Z_EN: 0
; COMPUTE_PGM_RSRC2:TIDIG_COMP_CNT: 0
	.text
	.p2alignl 6, 3214868480
	.fill 48, 4, 3214868480
	.type	__hip_cuid_2e3ec365970aa034,@object ; @__hip_cuid_2e3ec365970aa034
	.section	.bss,"aw",@nobits
	.globl	__hip_cuid_2e3ec365970aa034
__hip_cuid_2e3ec365970aa034:
	.byte	0                               ; 0x0
	.size	__hip_cuid_2e3ec365970aa034, 1

	.ident	"AMD clang version 19.0.0git (https://github.com/RadeonOpenCompute/llvm-project roc-6.4.0 25133 c7fe45cf4b819c5991fe208aaa96edf142730f1d)"
	.section	".note.GNU-stack","",@progbits
	.addrsig
	.addrsig_sym __hip_cuid_2e3ec365970aa034
	.amdgpu_metadata
---
amdhsa.kernels:
  - .args:
      - .actual_access:  read_only
        .address_space:  global
        .offset:         0
        .size:           8
        .value_kind:     global_buffer
      - .actual_access:  read_only
        .address_space:  global
        .offset:         8
        .size:           8
        .value_kind:     global_buffer
      - .actual_access:  read_only
        .address_space:  global
        .offset:         16
        .size:           8
        .value_kind:     global_buffer
      - .actual_access:  read_only
        .address_space:  global
        .offset:         24
        .size:           8
        .value_kind:     global_buffer
      - .actual_access:  read_only
        .address_space:  global
        .offset:         32
        .size:           8
        .value_kind:     global_buffer
      - .offset:         40
        .size:           8
        .value_kind:     by_value
      - .address_space:  global
        .offset:         48
        .size:           8
        .value_kind:     global_buffer
      - .address_space:  global
        .offset:         56
        .size:           8
        .value_kind:     global_buffer
      - .address_space:  global
        .offset:         64
        .size:           8
        .value_kind:     global_buffer
      - .address_space:  global
        .offset:         72
        .size:           8
        .value_kind:     global_buffer
      - .offset:         80
        .size:           4
        .value_kind:     by_value
      - .address_space:  global
        .offset:         88
        .size:           8
        .value_kind:     global_buffer
      - .address_space:  global
        .offset:         96
        .size:           8
        .value_kind:     global_buffer
    .group_segment_fixed_size: 24336
    .kernarg_segment_align: 8
    .kernarg_segment_size: 104
    .language:       OpenCL C
    .language_version:
      - 2
      - 0
    .max_flat_workgroup_size: 117
    .name:           bluestein_single_back_len1521_dim1_dp_op_CI_CI
    .private_segment_fixed_size: 204
    .sgpr_count:     54
    .sgpr_spill_count: 0
    .symbol:         bluestein_single_back_len1521_dim1_dp_op_CI_CI.kd
    .uniform_work_group_size: 1
    .uses_dynamic_stack: false
    .vgpr_count:     256
    .vgpr_spill_count: 50
    .wavefront_size: 32
    .workgroup_processor_mode: 1
amdhsa.target:   amdgcn-amd-amdhsa--gfx1030
amdhsa.version:
  - 1
  - 2
...

	.end_amdgpu_metadata
